;; amdgpu-corpus repo=ROCm/rocFFT kind=compiled arch=gfx906 opt=O3
	.text
	.amdgcn_target "amdgcn-amd-amdhsa--gfx906"
	.amdhsa_code_object_version 6
	.protected	fft_rtc_back_len1224_factors_17_3_4_6_wgs_204_tpt_102_halfLds_sp_op_CI_CI_unitstride_sbrr_R2C_dirReg ; -- Begin function fft_rtc_back_len1224_factors_17_3_4_6_wgs_204_tpt_102_halfLds_sp_op_CI_CI_unitstride_sbrr_R2C_dirReg
	.globl	fft_rtc_back_len1224_factors_17_3_4_6_wgs_204_tpt_102_halfLds_sp_op_CI_CI_unitstride_sbrr_R2C_dirReg
	.p2align	8
	.type	fft_rtc_back_len1224_factors_17_3_4_6_wgs_204_tpt_102_halfLds_sp_op_CI_CI_unitstride_sbrr_R2C_dirReg,@function
fft_rtc_back_len1224_factors_17_3_4_6_wgs_204_tpt_102_halfLds_sp_op_CI_CI_unitstride_sbrr_R2C_dirReg: ; @fft_rtc_back_len1224_factors_17_3_4_6_wgs_204_tpt_102_halfLds_sp_op_CI_CI_unitstride_sbrr_R2C_dirReg
; %bb.0:
	s_load_dwordx4 s[8:11], s[4:5], 0x58
	s_load_dwordx4 s[12:15], s[4:5], 0x0
	;; [unrolled: 1-line block ×3, first 2 shown]
	v_mul_u32_u24_e32 v1, 0x283, v0
	v_lshrrev_b32_e32 v7, 16, v1
	v_mov_b32_e32 v3, 0
	s_waitcnt lgkmcnt(0)
	v_cmp_lt_u64_e64 s[0:1], s[14:15], 2
	v_mov_b32_e32 v1, 0
	v_lshl_add_u32 v5, s6, 1, v7
	v_mov_b32_e32 v6, v3
	s_and_b64 vcc, exec, s[0:1]
	v_mov_b32_e32 v2, 0
	s_cbranch_vccnz .LBB0_8
; %bb.1:
	s_load_dwordx2 s[0:1], s[4:5], 0x10
	s_add_u32 s2, s18, 8
	s_addc_u32 s3, s19, 0
	s_add_u32 s6, s16, 8
	v_mov_b32_e32 v1, 0
	s_addc_u32 s7, s17, 0
	v_mov_b32_e32 v2, 0
	s_waitcnt lgkmcnt(0)
	s_add_u32 s20, s0, 8
	v_mov_b32_e32 v33, v2
	s_addc_u32 s21, s1, 0
	s_mov_b64 s[22:23], 1
	v_mov_b32_e32 v32, v1
.LBB0_2:                                ; =>This Inner Loop Header: Depth=1
	s_load_dwordx2 s[24:25], s[20:21], 0x0
                                        ; implicit-def: $vgpr34_vgpr35
	s_waitcnt lgkmcnt(0)
	v_or_b32_e32 v4, s25, v6
	v_cmp_ne_u64_e32 vcc, 0, v[3:4]
	s_and_saveexec_b64 s[0:1], vcc
	s_xor_b64 s[26:27], exec, s[0:1]
	s_cbranch_execz .LBB0_4
; %bb.3:                                ;   in Loop: Header=BB0_2 Depth=1
	v_cvt_f32_u32_e32 v4, s24
	v_cvt_f32_u32_e32 v8, s25
	s_sub_u32 s0, 0, s24
	s_subb_u32 s1, 0, s25
	v_mac_f32_e32 v4, 0x4f800000, v8
	v_rcp_f32_e32 v4, v4
	v_mul_f32_e32 v4, 0x5f7ffffc, v4
	v_mul_f32_e32 v8, 0x2f800000, v4
	v_trunc_f32_e32 v8, v8
	v_mac_f32_e32 v4, 0xcf800000, v8
	v_cvt_u32_f32_e32 v8, v8
	v_cvt_u32_f32_e32 v4, v4
	v_mul_lo_u32 v9, s0, v8
	v_mul_hi_u32 v10, s0, v4
	v_mul_lo_u32 v12, s1, v4
	v_mul_lo_u32 v11, s0, v4
	v_add_u32_e32 v9, v10, v9
	v_add_u32_e32 v9, v9, v12
	v_mul_hi_u32 v10, v4, v11
	v_mul_lo_u32 v12, v4, v9
	v_mul_hi_u32 v14, v4, v9
	v_mul_hi_u32 v13, v8, v11
	v_mul_lo_u32 v11, v8, v11
	v_mul_hi_u32 v15, v8, v9
	v_add_co_u32_e32 v10, vcc, v10, v12
	v_addc_co_u32_e32 v12, vcc, 0, v14, vcc
	v_mul_lo_u32 v9, v8, v9
	v_add_co_u32_e32 v10, vcc, v10, v11
	v_addc_co_u32_e32 v10, vcc, v12, v13, vcc
	v_addc_co_u32_e32 v11, vcc, 0, v15, vcc
	v_add_co_u32_e32 v9, vcc, v10, v9
	v_addc_co_u32_e32 v10, vcc, 0, v11, vcc
	v_add_co_u32_e32 v4, vcc, v4, v9
	v_addc_co_u32_e32 v8, vcc, v8, v10, vcc
	v_mul_lo_u32 v9, s0, v8
	v_mul_hi_u32 v10, s0, v4
	v_mul_lo_u32 v11, s1, v4
	v_mul_lo_u32 v12, s0, v4
	v_add_u32_e32 v9, v10, v9
	v_add_u32_e32 v9, v9, v11
	v_mul_lo_u32 v13, v4, v9
	v_mul_hi_u32 v14, v4, v12
	v_mul_hi_u32 v15, v4, v9
	;; [unrolled: 1-line block ×3, first 2 shown]
	v_mul_lo_u32 v12, v8, v12
	v_mul_hi_u32 v10, v8, v9
	v_add_co_u32_e32 v13, vcc, v14, v13
	v_addc_co_u32_e32 v14, vcc, 0, v15, vcc
	v_mul_lo_u32 v9, v8, v9
	v_add_co_u32_e32 v12, vcc, v13, v12
	v_addc_co_u32_e32 v11, vcc, v14, v11, vcc
	v_addc_co_u32_e32 v10, vcc, 0, v10, vcc
	v_add_co_u32_e32 v9, vcc, v11, v9
	v_addc_co_u32_e32 v10, vcc, 0, v10, vcc
	v_add_co_u32_e32 v4, vcc, v4, v9
	v_addc_co_u32_e32 v10, vcc, v8, v10, vcc
	v_mad_u64_u32 v[8:9], s[0:1], v5, v10, 0
	v_mul_hi_u32 v11, v5, v4
	v_add_co_u32_e32 v12, vcc, v11, v8
	v_addc_co_u32_e32 v13, vcc, 0, v9, vcc
	v_mad_u64_u32 v[8:9], s[0:1], v6, v4, 0
	v_mad_u64_u32 v[10:11], s[0:1], v6, v10, 0
	v_add_co_u32_e32 v4, vcc, v12, v8
	v_addc_co_u32_e32 v4, vcc, v13, v9, vcc
	v_addc_co_u32_e32 v8, vcc, 0, v11, vcc
	v_add_co_u32_e32 v4, vcc, v4, v10
	v_addc_co_u32_e32 v10, vcc, 0, v8, vcc
	v_mul_lo_u32 v11, s25, v4
	v_mul_lo_u32 v12, s24, v10
	v_mad_u64_u32 v[8:9], s[0:1], s24, v4, 0
	v_add3_u32 v9, v9, v12, v11
	v_sub_u32_e32 v11, v6, v9
	v_mov_b32_e32 v12, s25
	v_sub_co_u32_e32 v8, vcc, v5, v8
	v_subb_co_u32_e64 v11, s[0:1], v11, v12, vcc
	v_subrev_co_u32_e64 v12, s[0:1], s24, v8
	v_subbrev_co_u32_e64 v11, s[0:1], 0, v11, s[0:1]
	v_cmp_le_u32_e64 s[0:1], s25, v11
	v_cndmask_b32_e64 v13, 0, -1, s[0:1]
	v_cmp_le_u32_e64 s[0:1], s24, v12
	v_cndmask_b32_e64 v12, 0, -1, s[0:1]
	v_cmp_eq_u32_e64 s[0:1], s25, v11
	v_cndmask_b32_e64 v11, v13, v12, s[0:1]
	v_add_co_u32_e64 v12, s[0:1], 2, v4
	v_addc_co_u32_e64 v13, s[0:1], 0, v10, s[0:1]
	v_add_co_u32_e64 v14, s[0:1], 1, v4
	v_addc_co_u32_e64 v15, s[0:1], 0, v10, s[0:1]
	v_subb_co_u32_e32 v9, vcc, v6, v9, vcc
	v_cmp_ne_u32_e64 s[0:1], 0, v11
	v_cmp_le_u32_e32 vcc, s25, v9
	v_cndmask_b32_e64 v11, v15, v13, s[0:1]
	v_cndmask_b32_e64 v13, 0, -1, vcc
	v_cmp_le_u32_e32 vcc, s24, v8
	v_cndmask_b32_e64 v8, 0, -1, vcc
	v_cmp_eq_u32_e32 vcc, s25, v9
	v_cndmask_b32_e32 v8, v13, v8, vcc
	v_cmp_ne_u32_e32 vcc, 0, v8
	v_cndmask_b32_e64 v8, v14, v12, s[0:1]
	v_cndmask_b32_e32 v35, v10, v11, vcc
	v_cndmask_b32_e32 v34, v4, v8, vcc
.LBB0_4:                                ;   in Loop: Header=BB0_2 Depth=1
	s_andn2_saveexec_b64 s[0:1], s[26:27]
	s_cbranch_execz .LBB0_6
; %bb.5:                                ;   in Loop: Header=BB0_2 Depth=1
	v_cvt_f32_u32_e32 v4, s24
	s_sub_i32 s26, 0, s24
	v_mov_b32_e32 v35, v3
	v_rcp_iflag_f32_e32 v4, v4
	v_mul_f32_e32 v4, 0x4f7ffffe, v4
	v_cvt_u32_f32_e32 v4, v4
	v_mul_lo_u32 v8, s26, v4
	v_mul_hi_u32 v8, v4, v8
	v_add_u32_e32 v4, v4, v8
	v_mul_hi_u32 v4, v5, v4
	v_mul_lo_u32 v8, v4, s24
	v_add_u32_e32 v9, 1, v4
	v_sub_u32_e32 v8, v5, v8
	v_subrev_u32_e32 v10, s24, v8
	v_cmp_le_u32_e32 vcc, s24, v8
	v_cndmask_b32_e32 v8, v8, v10, vcc
	v_cndmask_b32_e32 v4, v4, v9, vcc
	v_add_u32_e32 v9, 1, v4
	v_cmp_le_u32_e32 vcc, s24, v8
	v_cndmask_b32_e32 v34, v4, v9, vcc
.LBB0_6:                                ;   in Loop: Header=BB0_2 Depth=1
	s_or_b64 exec, exec, s[0:1]
	v_mul_lo_u32 v4, v35, s24
	v_mul_lo_u32 v10, v34, s25
	v_mad_u64_u32 v[8:9], s[0:1], v34, s24, 0
	s_load_dwordx2 s[0:1], s[6:7], 0x0
	s_load_dwordx2 s[24:25], s[2:3], 0x0
	v_add3_u32 v4, v9, v10, v4
	v_sub_co_u32_e32 v5, vcc, v5, v8
	v_subb_co_u32_e32 v4, vcc, v6, v4, vcc
	s_waitcnt lgkmcnt(0)
	v_mul_lo_u32 v6, s0, v4
	v_mul_lo_u32 v8, s1, v5
	v_mad_u64_u32 v[1:2], s[0:1], s0, v5, v[1:2]
	v_mul_lo_u32 v4, s24, v4
	v_mul_lo_u32 v9, s25, v5
	v_mad_u64_u32 v[32:33], s[0:1], s24, v5, v[32:33]
	s_add_u32 s22, s22, 1
	s_addc_u32 s23, s23, 0
	s_add_u32 s2, s2, 8
	v_add3_u32 v33, v9, v33, v4
	s_addc_u32 s3, s3, 0
	v_mov_b32_e32 v4, s14
	s_add_u32 s6, s6, 8
	v_mov_b32_e32 v5, s15
	s_addc_u32 s7, s7, 0
	v_cmp_ge_u64_e32 vcc, s[22:23], v[4:5]
	s_add_u32 s20, s20, 8
	v_add3_u32 v2, v8, v2, v6
	s_addc_u32 s21, s21, 0
	s_cbranch_vccnz .LBB0_9
; %bb.7:                                ;   in Loop: Header=BB0_2 Depth=1
	v_mov_b32_e32 v5, v34
	v_mov_b32_e32 v6, v35
	s_branch .LBB0_2
.LBB0_8:
	v_mov_b32_e32 v33, v2
	v_mov_b32_e32 v35, v6
	;; [unrolled: 1-line block ×4, first 2 shown]
.LBB0_9:
	s_load_dwordx2 s[2:3], s[4:5], 0x28
	s_lshl_b64 s[6:7], s[14:15], 3
	s_add_u32 s4, s18, s6
	v_and_b32_e32 v3, 1, v7
	s_addc_u32 s5, s19, s7
	s_waitcnt lgkmcnt(0)
	v_cmp_gt_u64_e64 s[0:1], s[2:3], v[34:35]
	v_cmp_le_u64_e64 s[2:3], s[2:3], v[34:35]
	v_cmp_eq_u32_e32 vcc, 1, v3
	v_mov_b32_e32 v3, 0x4c9
                                        ; implicit-def: $vgpr36
	s_and_saveexec_b64 s[14:15], s[2:3]
	s_xor_b64 s[2:3], exec, s[14:15]
; %bb.10:
	s_mov_b32 s14, 0x2828283
	v_mul_hi_u32 v1, v0, s14
	v_mul_u32_u24_e32 v1, 0x66, v1
	v_sub_u32_e32 v36, v0, v1
                                        ; implicit-def: $vgpr0
                                        ; implicit-def: $vgpr1_vgpr2
; %bb.11:
	s_or_saveexec_b64 s[2:3], s[2:3]
	v_cndmask_b32_e32 v3, 0, v3, vcc
	v_lshlrev_b32_e32 v47, 3, v3
	s_xor_b64 exec, exec, s[2:3]
	s_cbranch_execz .LBB0_13
; %bb.12:
	s_add_u32 s6, s16, s6
	s_addc_u32 s7, s17, s7
	s_load_dwordx2 s[6:7], s[6:7], 0x0
	s_mov_b32 s14, 0x2828283
	v_mul_hi_u32 v5, v0, s14
	s_waitcnt lgkmcnt(0)
	v_mul_lo_u32 v6, s7, v34
	v_mul_lo_u32 v7, s6, v35
	v_mad_u64_u32 v[3:4], s[6:7], s6, v34, 0
	v_mul_u32_u24_e32 v5, 0x66, v5
	v_sub_u32_e32 v36, v0, v5
	v_add3_u32 v4, v4, v7, v6
	v_lshlrev_b64 v[3:4], 3, v[3:4]
	v_mov_b32_e32 v0, s9
	v_add_co_u32_e32 v3, vcc, s8, v3
	v_addc_co_u32_e32 v4, vcc, v0, v4, vcc
	v_lshlrev_b64 v[0:1], 3, v[1:2]
	v_lshlrev_b32_e32 v30, 3, v36
	v_add_co_u32_e32 v0, vcc, v3, v0
	v_addc_co_u32_e32 v1, vcc, v4, v1, vcc
	v_add_co_u32_e32 v0, vcc, v0, v30
	v_addc_co_u32_e32 v1, vcc, 0, v1, vcc
	s_movk_i32 s6, 0x1000
	v_add_co_u32_e32 v10, vcc, s6, v0
	v_addc_co_u32_e32 v11, vcc, 0, v1, vcc
	global_load_dwordx2 v[2:3], v[0:1], off
	global_load_dwordx2 v[4:5], v[0:1], off offset:816
	global_load_dwordx2 v[6:7], v[0:1], off offset:1632
	;; [unrolled: 1-line block ×3, first 2 shown]
	v_add_co_u32_e32 v12, vcc, 0x2000, v0
	v_addc_co_u32_e32 v13, vcc, 0, v1, vcc
	global_load_dwordx2 v[14:15], v[0:1], off offset:3264
	global_load_dwordx2 v[16:17], v[0:1], off offset:4080
	;; [unrolled: 1-line block ×8, first 2 shown]
	v_add3_u32 v0, 0, v47, v30
	v_add_u32_e32 v1, 0x400, v0
	v_add_u32_e32 v10, 0x800, v0
	;; [unrolled: 1-line block ×4, first 2 shown]
	s_waitcnt vmcnt(10)
	ds_write2_b64 v0, v[2:3], v[4:5] offset1:102
	s_waitcnt vmcnt(8)
	ds_write2_b64 v1, v[6:7], v[8:9] offset0:76 offset1:178
	s_waitcnt vmcnt(6)
	ds_write2_b64 v10, v[14:15], v[16:17] offset0:152 offset1:254
	;; [unrolled: 2-line block ×4, first 2 shown]
	v_add_u32_e32 v0, 0x1c00, v0
	s_waitcnt vmcnt(0)
	ds_write2_b64 v0, v[26:27], v[28:29] offset0:124 offset1:226
.LBB0_13:
	s_or_b64 exec, exec, s[2:3]
	v_lshlrev_b32_e32 v41, 3, v36
	v_add_u32_e32 v0, 0, v41
	v_add_u32_e32 v39, 0, v47
	;; [unrolled: 1-line block ×5, first 2 shown]
	s_waitcnt lgkmcnt(0)
	s_barrier
	ds_read_b64 v[37:38], v40
	ds_read2_b64 v[12:15], v42 offset0:72 offset1:144
	v_add_u32_e32 v43, 0x400, v42
	v_add_u32_e32 v44, 0x800, v42
	;; [unrolled: 1-line block ×5, first 2 shown]
	ds_read2_b64 v[0:3], v0 offset0:56 offset1:128
	ds_read2_b64 v[20:23], v43 offset0:88 offset1:160
	;; [unrolled: 1-line block ×7, first 2 shown]
	s_movk_i32 s2, 0x48
	s_movk_i32 s6, 0x1000
	v_cmp_gt_u32_e32 vcc, s2, v36
	s_waitcnt lgkmcnt(0)
	s_barrier
	s_and_saveexec_b64 s[2:3], vcc
	s_cbranch_execz .LBB0_15
; %bb.14:
	v_sub_f32_e32 v49, v12, v2
	v_mul_f32_e32 v65, 0xbf06c442, v49
	v_add_f32_e32 v59, v3, v13
	v_mov_b32_e32 v50, v65
	v_fmac_f32_e32 v50, 0xbf59a7d5, v59
	v_add_f32_e32 v51, v38, v50
	v_sub_f32_e32 v50, v14, v0
	v_add_f32_e32 v70, v38, v13
	v_mul_f32_e32 v66, 0x3f65296c, v50
	v_add_f32_e32 v70, v70, v15
	v_add_f32_e32 v60, v1, v15
	v_mov_b32_e32 v52, v66
	v_add_f32_e32 v70, v70, v21
	v_fmac_f32_e32 v52, 0x3ee437d1, v60
	v_add_f32_e32 v70, v70, v23
	v_add_f32_e32 v52, v52, v51
	v_sub_f32_e32 v51, v20, v6
	v_add_f32_e32 v70, v70, v17
	v_mul_f32_e32 v67, 0xbf7ee86f, v51
	v_add_f32_e32 v70, v70, v19
	v_add_f32_e32 v61, v7, v21
	v_mov_b32_e32 v53, v67
	v_add_f32_e32 v63, v27, v29
	v_sub_f32_e32 v64, v29, v27
	v_add_f32_e32 v29, v70, v29
	v_fmac_f32_e32 v53, 0x3dbcf732, v61
	v_add_f32_e32 v70, v29, v31
	v_add_f32_e32 v29, v37, v12
	;; [unrolled: 1-line block ×3, first 2 shown]
	v_sub_f32_e32 v52, v22, v4
	v_add_f32_e32 v29, v29, v14
	v_mul_f32_e32 v68, 0x3f4c4adb, v52
	v_add_f32_e32 v29, v29, v20
	v_add_f32_e32 v62, v5, v23
	v_mov_b32_e32 v54, v68
	v_add_f32_e32 v29, v29, v22
	v_fmac_f32_e32 v54, 0xbf1a4643, v62
	v_add_f32_e32 v29, v29, v16
	v_add_f32_e32 v69, v54, v53
	v_sub_f32_e32 v53, v16, v10
	v_add_f32_e32 v29, v29, v18
	v_sub_f32_e32 v54, v28, v26
	v_add_f32_e32 v56, v26, v28
	v_add_f32_e32 v28, v29, v28
	v_mul_f32_e32 v73, 0xbeb8f4ab, v53
	v_sub_f32_e32 v55, v30, v24
	v_add_f32_e32 v57, v24, v30
	v_add_f32_e32 v30, v28, v30
	;; [unrolled: 1-line block ×3, first 2 shown]
	v_mov_b32_e32 v28, v73
	v_fmac_f32_e32 v28, 0x3f6eb680, v71
	v_add_f32_e32 v74, v28, v69
	v_sub_f32_e32 v28, v18, v8
	v_add_f32_e32 v24, v30, v24
	v_sub_f32_e32 v30, v23, v5
	v_add_f32_e32 v23, v8, v18
	v_mul_f32_e32 v18, 0xbe3c28d5, v28
	v_add_f32_e32 v76, v24, v26
	v_add_f32_e32 v72, v9, v19
	;; [unrolled: 1-line block ×3, first 2 shown]
	v_sub_f32_e32 v26, v19, v9
	v_mov_b32_e32 v12, v18
	v_mul_f32_e32 v19, 0x3f2c7751, v54
	v_add_f32_e32 v58, v25, v31
	v_sub_f32_e32 v29, v31, v25
	v_add_f32_e32 v25, v70, v25
	v_sub_f32_e32 v70, v13, v3
	v_fmac_f32_e32 v12, 0xbf7ba420, v72
	v_mov_b32_e32 v13, v19
	s_mov_b32 s7, 0xbf59a7d5
	v_sub_f32_e32 v69, v15, v1
	v_add_f32_e32 v12, v12, v74
	v_fmac_f32_e32 v13, 0x3f3d2fb0, v63
	v_mul_f32_e32 v74, 0xbf06c442, v70
	s_mov_b32 s8, 0x3ee437d1
	v_add_f32_e32 v75, v25, v27
	v_add_f32_e32 v25, v0, v14
	v_sub_f32_e32 v31, v21, v7
	v_add_f32_e32 v12, v13, v12
	v_fma_f32 v13, v24, s7, -v74
	v_mul_f32_e32 v77, 0x3f65296c, v69
	v_add_f32_e32 v20, v6, v20
	v_add_f32_e32 v13, v37, v13
	v_fma_f32 v14, v25, s8, -v77
	s_mov_b32 s9, 0x3dbcf732
	v_mul_f32_e32 v78, 0xbf7ee86f, v31
	v_add_f32_e32 v21, v4, v22
	v_sub_f32_e32 v27, v17, v11
	v_add_f32_e32 v13, v14, v13
	v_fma_f32 v14, v20, s9, -v78
	s_mov_b32 s14, 0xbf1a4643
	v_mul_f32_e32 v79, 0x3f4c4adb, v30
	v_add_f32_e32 v22, v10, v16
	v_add_f32_e32 v13, v14, v13
	v_fma_f32 v14, v21, s14, -v79
	s_mov_b32 s16, 0x3f6eb680
	v_mul_f32_e32 v80, 0xbeb8f4ab, v27
	v_add_f32_e32 v13, v14, v13
	v_fma_f32 v14, v22, s16, -v80
	s_mov_b32 s15, 0xbf7ba420
	v_mul_f32_e32 v81, 0xbe3c28d5, v26
	;; [unrolled: 4-line block ×3, first 2 shown]
	v_add_f32_e32 v13, v14, v13
	v_fma_f32 v14, v56, s18, -v82
	v_mul_f32_e32 v83, 0xbf763a35, v55
	v_add_f32_e32 v14, v14, v13
	v_mov_b32_e32 v13, v83
	s_mov_b32 s17, 0xbe8c1d8e
	v_fmac_f32_e32 v13, 0xbe8c1d8e, v58
	v_mul_f32_e32 v84, 0xbf763a35, v29
	v_add_f32_e32 v13, v13, v12
	v_fma_f32 v12, v57, s17, -v84
	v_mul_f32_e32 v16, 0xbe3c28d5, v49
	v_add_f32_e32 v12, v12, v14
	v_mov_b32_e32 v14, v16
	v_mul_f32_e32 v17, 0x3eb8f4ab, v50
	v_fmac_f32_e32 v14, 0xbf7ba420, v59
	v_mov_b32_e32 v15, v17
	v_add_f32_e32 v14, v38, v14
	v_fmac_f32_e32 v15, 0x3f6eb680, v60
	v_mul_f32_e32 v85, 0xbf06c442, v51
	v_add_f32_e32 v14, v15, v14
	v_mov_b32_e32 v15, v85
	v_fmac_f32_e32 v15, 0xbf59a7d5, v61
	v_mul_f32_e32 v86, 0x3f2c7751, v52
	v_add_f32_e32 v14, v15, v14
	v_mov_b32_e32 v15, v86
	v_fmac_f32_e32 v15, 0x3f3d2fb0, v62
	v_mul_f32_e32 v87, 0xbf4c4adb, v53
	v_add_f32_e32 v14, v15, v14
	v_mov_b32_e32 v15, v87
	v_fma_f32 v65, v59, s7, -v65
	v_fmac_f32_e32 v15, 0xbf1a4643, v71
	v_mul_f32_e32 v88, 0x3f65296c, v28
	v_add_f32_e32 v65, v38, v65
	v_fma_f32 v66, v60, s8, -v66
	v_add_f32_e32 v14, v15, v14
	v_mov_b32_e32 v15, v88
	v_add_f32_e32 v65, v66, v65
	v_fma_f32 v66, v61, s9, -v67
	v_fmac_f32_e32 v15, 0x3ee437d1, v72
	v_mul_f32_e32 v89, 0xbf763a35, v54
	v_add_f32_e32 v65, v66, v65
	v_fma_f32 v66, v62, s14, -v68
	v_add_f32_e32 v8, v76, v8
	v_add_f32_e32 v14, v15, v14
	v_mov_b32_e32 v15, v89
	v_add_f32_e32 v65, v66, v65
	v_fma_f32 v66, v71, s16, -v73
	v_add_f32_e32 v9, v75, v9
	v_add_f32_e32 v8, v8, v10
	v_fmac_f32_e32 v15, 0xbe8c1d8e, v63
	v_mul_f32_e32 v90, 0xbe3c28d5, v70
	v_add_f32_e32 v65, v66, v65
	v_fma_f32 v18, v72, s15, -v18
	v_add_f32_e32 v9, v9, v11
	v_add_f32_e32 v4, v8, v4
	;; [unrolled: 1-line block ×3, first 2 shown]
	v_fma_f32 v15, v24, s15, -v90
	v_mul_f32_e32 v91, 0x3eb8f4ab, v69
	v_add_f32_e32 v18, v18, v65
	v_fma_f32 v19, v63, s18, -v19
	v_fmac_f32_e32 v74, 0xbf59a7d5, v24
	v_add_f32_e32 v5, v9, v5
	v_add_f32_e32 v4, v4, v6
	;; [unrolled: 1-line block ×3, first 2 shown]
	v_fma_f32 v92, v25, s16, -v91
	v_fma_f32 v16, v59, s15, -v16
	v_add_f32_e32 v18, v19, v18
	v_add_f32_e32 v19, v37, v74
	v_fmac_f32_e32 v77, 0x3ee437d1, v25
	v_add_f32_e32 v5, v5, v7
	v_add_f32_e32 v0, v4, v0
	v_mul_f32_e32 v76, 0xbf4c4adb, v70
	v_add_f32_e32 v15, v92, v15
	v_mul_f32_e32 v92, 0xbf06c442, v31
	v_add_f32_e32 v16, v38, v16
	v_fma_f32 v17, v60, s16, -v17
	v_add_f32_e32 v19, v77, v19
	v_add_f32_e32 v1, v5, v1
	;; [unrolled: 1-line block ×3, first 2 shown]
	v_mov_b32_e32 v2, v76
	v_mul_f32_e32 v77, 0x3f763a35, v69
	v_fma_f32 v93, v20, s7, -v92
	v_add_f32_e32 v16, v17, v16
	v_fma_f32 v17, v61, s7, -v85
	v_fmac_f32_e32 v78, 0x3dbcf732, v20
	v_add_f32_e32 v1, v1, v3
	v_fmac_f32_e32 v2, 0xbf1a4643, v24
	v_mov_b32_e32 v3, v77
	v_add_f32_e32 v15, v93, v15
	v_mul_f32_e32 v93, 0x3f2c7751, v30
	v_add_f32_e32 v16, v17, v16
	v_fma_f32 v17, v62, s18, -v86
	v_add_f32_e32 v19, v78, v19
	v_add_f32_e32 v2, v37, v2
	v_fmac_f32_e32 v3, 0xbe8c1d8e, v25
	v_mul_f32_e32 v78, 0xbeb8f4ab, v31
	v_fma_f32 v94, v21, s18, -v93
	v_add_f32_e32 v16, v17, v16
	v_fma_f32 v17, v71, s14, -v87
	v_fmac_f32_e32 v79, 0xbf1a4643, v21
	v_add_f32_e32 v2, v3, v2
	v_mov_b32_e32 v3, v78
	v_add_f32_e32 v15, v94, v15
	v_mul_f32_e32 v94, 0xbf4c4adb, v27
	v_add_f32_e32 v16, v17, v16
	v_fma_f32 v17, v72, s8, -v88
	v_add_f32_e32 v19, v79, v19
	v_fmac_f32_e32 v3, 0x3f6eb680, v20
	v_mul_f32_e32 v79, 0xbf06c442, v30
	v_fma_f32 v95, v22, s14, -v94
	v_add_f32_e32 v16, v17, v16
	v_fma_f32 v17, v63, s17, -v89
	v_fmac_f32_e32 v90, 0xbf7ba420, v24
	v_fmac_f32_e32 v80, 0x3f6eb680, v22
	v_add_f32_e32 v2, v3, v2
	v_mov_b32_e32 v3, v79
	v_add_f32_e32 v15, v95, v15
	v_mul_f32_e32 v95, 0x3f65296c, v26
	v_add_f32_e32 v16, v17, v16
	v_add_f32_e32 v17, v37, v90
	v_fmac_f32_e32 v91, 0x3f6eb680, v25
	v_add_f32_e32 v19, v80, v19
	v_fmac_f32_e32 v3, 0xbf59a7d5, v21
	v_mul_f32_e32 v80, 0x3f7ee86f, v27
	v_fma_f32 v96, v23, s8, -v95
	v_add_f32_e32 v17, v91, v17
	v_fmac_f32_e32 v92, 0xbf59a7d5, v20
	v_fmac_f32_e32 v81, 0xbf7ba420, v23
	v_add_f32_e32 v2, v3, v2
	v_mov_b32_e32 v3, v80
	v_add_f32_e32 v15, v96, v15
	v_mul_f32_e32 v96, 0xbf763a35, v64
	v_add_f32_e32 v17, v92, v17
	v_fmac_f32_e32 v93, 0x3f3d2fb0, v21
	v_add_f32_e32 v19, v81, v19
	v_fmac_f32_e32 v3, 0x3dbcf732, v22
	v_mul_f32_e32 v81, 0xbf2c7751, v26
	v_fma_f32 v97, v56, s17, -v96
	v_mul_f32_e32 v98, 0x3f7ee86f, v55
	v_add_f32_e32 v17, v93, v17
	v_fmac_f32_e32 v94, 0xbf1a4643, v22
	v_fmac_f32_e32 v82, 0x3f3d2fb0, v56
	v_add_f32_e32 v2, v3, v2
	v_mov_b32_e32 v3, v81
	v_add_f32_e32 v97, v97, v15
	v_mov_b32_e32 v15, v98
	v_add_f32_e32 v17, v94, v17
	v_fmac_f32_e32 v95, 0x3ee437d1, v23
	v_add_f32_e32 v65, v82, v19
	v_fma_f32 v19, v58, s17, -v83
	v_fmac_f32_e32 v84, 0xbe8c1d8e, v57
	v_fmac_f32_e32 v3, 0x3f3d2fb0, v23
	v_mul_f32_e32 v82, 0xbe3c28d5, v64
	v_fmac_f32_e32 v15, 0x3dbcf732, v58
	v_mul_f32_e32 v99, 0x3f7ee86f, v29
	v_add_f32_e32 v17, v95, v17
	v_fmac_f32_e32 v96, 0xbe8c1d8e, v56
	v_add_f32_e32 v19, v19, v18
	v_add_f32_e32 v18, v84, v65
	;; [unrolled: 1-line block ×3, first 2 shown]
	v_mov_b32_e32 v3, v82
	v_mul_f32_e32 v84, 0x3f65296c, v29
	v_add_f32_e32 v15, v15, v14
	v_fma_f32 v14, v57, s9, -v99
	v_add_f32_e32 v85, v96, v17
	v_fma_f32 v17, v58, s9, -v98
	v_fmac_f32_e32 v99, 0x3dbcf732, v57
	v_fmac_f32_e32 v3, 0xbf7ba420, v56
	v_mov_b32_e32 v4, v84
	v_add_f32_e32 v17, v17, v16
	v_add_f32_e32 v16, v99, v85
	;; [unrolled: 1-line block ×3, first 2 shown]
	v_fmac_f32_e32 v4, 0x3ee437d1, v57
	v_mul_f32_e32 v85, 0xbe8c1d8e, v59
	v_add_f32_e32 v2, v4, v2
	v_mov_b32_e32 v4, v85
	v_mul_f32_e32 v86, 0xbf59a7d5, v60
	v_mul_f32_e32 v65, 0xbf1a4643, v59
	v_fmac_f32_e32 v4, 0x3f763a35, v49
	v_mov_b32_e32 v5, v86
	v_mov_b32_e32 v10, v65
	v_mul_f32_e32 v66, 0xbe8c1d8e, v60
	v_add_f32_e32 v4, v38, v4
	v_fmac_f32_e32 v5, 0xbf06c442, v50
	v_mul_f32_e32 v87, 0x3f3d2fb0, v61
	v_fmac_f32_e32 v10, 0x3f4c4adb, v49
	v_mov_b32_e32 v11, v66
	v_add_f32_e32 v4, v5, v4
	v_mov_b32_e32 v5, v87
	v_add_f32_e32 v10, v38, v10
	v_fmac_f32_e32 v11, 0xbf763a35, v50
	v_mul_f32_e32 v67, 0x3f6eb680, v61
	v_fmac_f32_e32 v5, 0xbf2c7751, v51
	v_mul_f32_e32 v88, 0x3ee437d1, v62
	v_add_f32_e32 v10, v11, v10
	v_mov_b32_e32 v11, v67
	v_add_f32_e32 v4, v5, v4
	v_mov_b32_e32 v5, v88
	v_fmac_f32_e32 v11, 0x3eb8f4ab, v51
	v_mul_f32_e32 v68, 0xbf59a7d5, v62
	v_fmac_f32_e32 v5, 0x3f65296c, v52
	v_mul_f32_e32 v89, 0xbf7ba420, v71
	v_add_f32_e32 v10, v11, v10
	v_mov_b32_e32 v11, v68
	v_mul_f32_e32 v73, 0x3dbcf732, v71
	v_add_f32_e32 v4, v5, v4
	v_mov_b32_e32 v5, v89
	v_fmac_f32_e32 v11, 0x3f06c442, v52
	v_mov_b32_e32 v6, v73
	v_mul_f32_e32 v74, 0x3f3d2fb0, v72
	v_fmac_f32_e32 v5, 0x3e3c28d5, v53
	v_mul_f32_e32 v90, 0x3dbcf732, v72
	v_add_f32_e32 v10, v11, v10
	v_fmac_f32_e32 v6, 0xbf7ee86f, v53
	v_mov_b32_e32 v7, v74
	v_add_f32_e32 v4, v5, v4
	v_mov_b32_e32 v5, v90
	v_add_f32_e32 v6, v6, v10
	v_fmac_f32_e32 v7, 0x3f2c7751, v28
	v_mul_f32_e32 v75, 0xbf7ba420, v63
	v_fmac_f32_e32 v5, 0xbf7ee86f, v28
	v_mul_f32_e32 v91, 0x3f6eb680, v63
	v_add_f32_e32 v6, v7, v6
	v_mov_b32_e32 v7, v75
	v_mul_f32_e32 v83, 0x3ee437d1, v58
	v_add_f32_e32 v4, v5, v4
	v_mov_b32_e32 v5, v91
	v_fmac_f32_e32 v7, 0x3e3c28d5, v54
	v_mov_b32_e32 v3, v83
	v_fmac_f32_e32 v5, 0x3eb8f4ab, v54
	v_mul_f32_e32 v92, 0xbf763a35, v70
	v_add_f32_e32 v6, v7, v6
	v_fmac_f32_e32 v3, 0xbf65296c, v55
	v_add_f32_e32 v4, v5, v4
	v_mov_b32_e32 v5, v92
	v_mul_f32_e32 v93, 0x3f06c442, v69
	v_add_f32_e32 v3, v3, v6
	v_fmac_f32_e32 v5, 0xbe8c1d8e, v24
	v_mov_b32_e32 v6, v93
	v_add_f32_e32 v5, v37, v5
	v_fmac_f32_e32 v6, 0xbf59a7d5, v25
	v_mul_f32_e32 v94, 0x3f2c7751, v31
	v_add_f32_e32 v5, v6, v5
	v_mov_b32_e32 v6, v94
	v_fmac_f32_e32 v6, 0x3f3d2fb0, v20
	v_mul_f32_e32 v95, 0xbf65296c, v30
	v_add_f32_e32 v5, v6, v5
	v_mov_b32_e32 v6, v95
	v_fmac_f32_e32 v6, 0x3ee437d1, v21
	v_mul_f32_e32 v96, 0xbe3c28d5, v27
	v_add_f32_e32 v5, v6, v5
	v_mov_b32_e32 v6, v96
	v_add_f32_e32 v14, v14, v97
	v_fmac_f32_e32 v6, 0xbf7ba420, v22
	v_mul_f32_e32 v97, 0x3f7ee86f, v26
	v_add_f32_e32 v5, v6, v5
	v_mov_b32_e32 v6, v97
	v_fmac_f32_e32 v6, 0x3dbcf732, v23
	v_mul_f32_e32 v98, 0xbeb8f4ab, v64
	v_add_f32_e32 v5, v6, v5
	v_mov_b32_e32 v6, v98
	;; [unrolled: 4-line block ×5, first 2 shown]
	v_mul_f32_e32 v102, 0xbf7ba420, v60
	v_fmac_f32_e32 v6, 0x3f7ee86f, v49
	v_mov_b32_e32 v7, v102
	v_add_f32_e32 v6, v38, v6
	v_fmac_f32_e32 v7, 0x3e3c28d5, v50
	v_mul_f32_e32 v103, 0xbe8c1d8e, v61
	v_add_f32_e32 v6, v7, v6
	v_mov_b32_e32 v7, v103
	v_fmac_f32_e32 v7, 0xbf763a35, v51
	v_mul_f32_e32 v104, 0x3f6eb680, v62
	v_add_f32_e32 v6, v7, v6
	v_mov_b32_e32 v7, v104
	;; [unrolled: 4-line block ×6, first 2 shown]
	v_mul_f32_e32 v109, 0xbe3c28d5, v69
	v_fmac_f32_e32 v7, 0x3dbcf732, v24
	v_mov_b32_e32 v8, v109
	v_add_f32_e32 v7, v37, v7
	v_fmac_f32_e32 v8, 0xbf7ba420, v25
	v_mul_f32_e32 v110, 0x3f763a35, v31
	v_add_f32_e32 v7, v8, v7
	v_mov_b32_e32 v8, v110
	v_fmac_f32_e32 v8, 0xbe8c1d8e, v20
	v_mul_f32_e32 v111, 0x3eb8f4ab, v30
	v_add_f32_e32 v7, v8, v7
	v_mov_b32_e32 v8, v111
	;; [unrolled: 4-line block ×8, first 2 shown]
	v_mul_f32_e32 v118, 0xbf1a4643, v60
	v_fmac_f32_e32 v8, 0x3f65296c, v49
	v_mov_b32_e32 v9, v118
	v_add_f32_e32 v8, v38, v8
	v_fmac_f32_e32 v9, 0x3f4c4adb, v50
	v_mul_f32_e32 v119, 0xbf7ba420, v61
	v_add_f32_e32 v8, v9, v8
	v_mov_b32_e32 v9, v119
	v_fmac_f32_e32 v9, 0xbe3c28d5, v51
	v_mul_f32_e32 v120, 0xbe8c1d8e, v62
	v_add_f32_e32 v8, v9, v8
	v_mov_b32_e32 v9, v120
	;; [unrolled: 4-line block ×6, first 2 shown]
	v_mul_f32_e32 v125, 0xbf4c4adb, v69
	v_fmac_f32_e32 v9, 0x3ee437d1, v24
	v_mov_b32_e32 v10, v125
	v_add_f32_e32 v9, v37, v9
	v_fmac_f32_e32 v10, 0xbf1a4643, v25
	v_mul_f32_e32 v126, 0x3e3c28d5, v31
	v_add_f32_e32 v9, v10, v9
	v_mov_b32_e32 v10, v126
	v_fmac_f32_e32 v10, 0xbf7ba420, v20
	v_mul_f32_e32 v127, 0x3f763a35, v30
	v_add_f32_e32 v9, v10, v9
	v_mov_b32_e32 v10, v127
	;; [unrolled: 4-line block ×8, first 2 shown]
	v_mul_f32_e32 v134, 0x3dbcf732, v60
	v_fmac_f32_e32 v10, 0x3f2c7751, v49
	v_mov_b32_e32 v11, v134
	v_add_f32_e32 v10, v38, v10
	v_fmac_f32_e32 v11, 0x3f7ee86f, v50
	v_mul_f32_e32 v135, 0xbf1a4643, v61
	v_add_f32_e32 v10, v11, v10
	v_mov_b32_e32 v11, v135
	v_fmac_f32_e32 v11, 0x3f4c4adb, v51
	v_mul_f32_e32 v136, 0xbf7ba420, v62
	v_add_f32_e32 v10, v11, v10
	v_mov_b32_e32 v11, v136
	;; [unrolled: 4-line block ×6, first 2 shown]
	v_mul_f32_e32 v141, 0xbf7ee86f, v69
	v_fmac_f32_e32 v11, 0x3f3d2fb0, v24
	v_mov_b32_e32 v142, v141
	v_add_f32_e32 v11, v37, v11
	v_fmac_f32_e32 v142, 0x3dbcf732, v25
	v_add_f32_e32 v11, v142, v11
	v_mul_f32_e32 v142, 0xbf4c4adb, v31
	v_mov_b32_e32 v143, v142
	v_fmac_f32_e32 v143, 0xbf1a4643, v20
	v_add_f32_e32 v11, v143, v11
	v_mul_f32_e32 v143, 0xbe3c28d5, v30
	v_mov_b32_e32 v144, v143
	;; [unrolled: 4-line block ×5, first 2 shown]
	v_fmac_f32_e32 v147, 0x3ee437d1, v56
	v_mul_f32_e32 v148, 0x3f6eb680, v58
	v_add_f32_e32 v147, v147, v11
	v_mov_b32_e32 v11, v148
	v_fmac_f32_e32 v11, 0xbeb8f4ab, v55
	v_mul_f32_e32 v149, 0x3eb8f4ab, v29
	v_add_f32_e32 v11, v11, v10
	v_mov_b32_e32 v10, v149
	v_fmac_f32_e32 v10, 0x3f6eb680, v57
	v_add_f32_e32 v10, v10, v147
	v_mul_f32_e32 v147, 0x3f6eb680, v59
	v_mov_b32_e32 v59, v147
	v_mul_f32_e32 v150, 0x3f3d2fb0, v60
	v_fmac_f32_e32 v59, 0x3eb8f4ab, v49
	v_mov_b32_e32 v60, v150
	v_add_f32_e32 v59, v38, v59
	v_fmac_f32_e32 v60, 0x3f2c7751, v50
	v_mul_f32_e32 v151, 0x3ee437d1, v61
	v_add_f32_e32 v59, v60, v59
	v_mov_b32_e32 v60, v151
	v_fmac_f32_e32 v60, 0x3f65296c, v51
	v_mul_f32_e32 v152, 0x3dbcf732, v62
	v_add_f32_e32 v59, v60, v59
	v_mov_b32_e32 v60, v152
	;; [unrolled: 4-line block ×6, first 2 shown]
	v_mul_f32_e32 v69, 0xbf2c7751, v69
	v_fmac_f32_e32 v60, 0x3f6eb680, v24
	v_mov_b32_e32 v61, v69
	v_add_f32_e32 v60, v37, v60
	v_fmac_f32_e32 v61, 0x3f3d2fb0, v25
	v_mul_f32_e32 v31, 0xbf65296c, v31
	v_add_f32_e32 v60, v61, v60
	v_mov_b32_e32 v61, v31
	v_mul_f32_e32 v154, 0xbf7ee86f, v30
	v_fmac_f32_e32 v61, 0x3ee437d1, v20
	v_mov_b32_e32 v30, v154
	v_mul_f32_e32 v155, 0xbf763a35, v27
	v_add_f32_e32 v60, v61, v60
	v_fmac_f32_e32 v30, 0x3dbcf732, v21
	v_mov_b32_e32 v27, v155
	v_mul_f32_e32 v156, 0xbf4c4adb, v26
	v_add_f32_e32 v30, v30, v60
	v_fmac_f32_e32 v27, 0xbe8c1d8e, v22
	v_mov_b32_e32 v26, v156
	v_add_f32_e32 v27, v27, v30
	v_fmac_f32_e32 v26, 0xbf1a4643, v23
	v_mul_f32_e32 v157, 0xbf06c442, v64
	v_add_f32_e32 v26, v26, v27
	v_mov_b32_e32 v27, v157
	v_mul_f32_e32 v159, 0xbe3c28d5, v29
	v_fmac_f32_e32 v27, 0xbf59a7d5, v56
	v_mov_b32_e32 v29, v159
	v_add_f32_e32 v26, v27, v26
	v_fmac_f32_e32 v29, 0xbf7ba420, v57
	v_fmac_f32_e32 v65, 0xbf4c4adb, v49
	v_add_f32_e32 v26, v29, v26
	v_add_f32_e32 v29, v38, v65
	v_fmac_f32_e32 v66, 0x3f763a35, v50
	v_fma_f32 v30, v24, s14, -v76
	v_mul_f32_e32 v158, 0xbf7ba420, v58
	v_add_f32_e32 v29, v66, v29
	v_fmac_f32_e32 v67, 0xbeb8f4ab, v51
	v_add_f32_e32 v30, v37, v30
	v_fma_f32 v58, v25, s17, -v77
	v_add_f32_e32 v29, v67, v29
	v_fmac_f32_e32 v68, 0xbf06c442, v52
	v_add_f32_e32 v30, v58, v30
	v_fma_f32 v58, v20, s16, -v78
	v_add_f32_e32 v29, v68, v29
	v_fmac_f32_e32 v73, 0x3f7ee86f, v53
	v_add_f32_e32 v30, v58, v30
	v_fma_f32 v58, v21, s7, -v79
	v_add_f32_e32 v29, v73, v29
	v_fmac_f32_e32 v74, 0xbf2c7751, v28
	v_add_f32_e32 v30, v58, v30
	v_fma_f32 v58, v22, s9, -v80
	v_add_f32_e32 v29, v74, v29
	v_fmac_f32_e32 v75, 0xbe3c28d5, v54
	v_add_f32_e32 v30, v58, v30
	v_fma_f32 v58, v23, s18, -v81
	v_mov_b32_e32 v27, v158
	v_add_f32_e32 v29, v75, v29
	v_add_f32_e32 v30, v58, v30
	v_fma_f32 v58, v56, s15, -v82
	v_fmac_f32_e32 v83, 0x3f65296c, v55
	v_fmac_f32_e32 v27, 0x3e3c28d5, v55
	v_add_f32_e32 v58, v58, v30
	v_add_f32_e32 v30, v83, v29
	v_fma_f32 v29, v57, s8, -v84
	v_fmac_f32_e32 v85, 0xbf763a35, v49
	v_add_f32_e32 v27, v27, v59
	v_add_f32_e32 v29, v29, v58
	;; [unrolled: 1-line block ×3, first 2 shown]
	v_fmac_f32_e32 v86, 0x3f06c442, v50
	v_fma_f32 v59, v24, s17, -v92
	v_add_f32_e32 v58, v86, v58
	v_fmac_f32_e32 v87, 0x3f2c7751, v51
	v_add_f32_e32 v59, v37, v59
	v_fma_f32 v60, v25, s7, -v93
	v_add_f32_e32 v58, v87, v58
	v_fmac_f32_e32 v88, 0xbf65296c, v52
	v_add_f32_e32 v59, v60, v59
	;; [unrolled: 4-line block ×5, first 2 shown]
	v_fma_f32 v60, v23, s9, -v97
	v_add_f32_e32 v58, v91, v58
	v_add_f32_e32 v59, v60, v59
	v_fma_f32 v60, v56, s16, -v98
	v_fmac_f32_e32 v99, 0xbf4c4adb, v55
	v_add_f32_e32 v60, v60, v59
	v_add_f32_e32 v59, v99, v58
	v_fma_f32 v58, v57, s14, -v100
	v_fmac_f32_e32 v101, 0xbf7ee86f, v49
	v_add_f32_e32 v58, v58, v60
	v_add_f32_e32 v60, v38, v101
	v_fmac_f32_e32 v102, 0xbe3c28d5, v50
	v_fma_f32 v61, v24, s9, -v108
	v_add_f32_e32 v60, v102, v60
	v_fmac_f32_e32 v103, 0x3f763a35, v51
	v_add_f32_e32 v61, v37, v61
	v_fma_f32 v62, v25, s15, -v109
	v_add_f32_e32 v60, v103, v60
	v_fmac_f32_e32 v104, 0x3eb8f4ab, v52
	v_add_f32_e32 v61, v62, v61
	;; [unrolled: 4-line block ×5, first 2 shown]
	v_fma_f32 v62, v23, s7, -v113
	v_add_f32_e32 v60, v107, v60
	v_add_f32_e32 v61, v62, v61
	v_fma_f32 v62, v56, s14, -v114
	v_fmac_f32_e32 v115, 0x3f2c7751, v55
	v_add_f32_e32 v62, v62, v61
	v_add_f32_e32 v61, v115, v60
	v_fma_f32 v60, v57, s18, -v116
	v_fmac_f32_e32 v117, 0xbf65296c, v49
	v_add_f32_e32 v60, v60, v62
	v_add_f32_e32 v62, v38, v117
	v_fmac_f32_e32 v118, 0xbf4c4adb, v50
	v_fma_f32 v63, v24, s8, -v124
	v_add_f32_e32 v62, v118, v62
	v_fmac_f32_e32 v119, 0x3e3c28d5, v51
	v_add_f32_e32 v63, v37, v63
	v_fma_f32 v64, v25, s14, -v125
	v_add_f32_e32 v62, v119, v62
	v_fmac_f32_e32 v120, 0x3f763a35, v52
	v_add_f32_e32 v63, v64, v63
	;; [unrolled: 4-line block ×5, first 2 shown]
	v_fma_f32 v64, v23, s16, -v129
	v_add_f32_e32 v62, v123, v62
	v_add_f32_e32 v63, v64, v63
	v_fma_f32 v64, v56, s9, -v130
	v_fmac_f32_e32 v131, 0xbf06c442, v55
	v_fma_f32 v65, v24, s18, -v140
	v_fma_f32 v24, v24, s16, -v70
	v_add_f32_e32 v64, v64, v63
	v_add_f32_e32 v63, v131, v62
	v_fma_f32 v62, v57, s7, -v132
	v_fmac_f32_e32 v133, 0xbf2c7751, v49
	v_add_f32_e32 v65, v37, v65
	v_fma_f32 v66, v25, s9, -v141
	v_add_f32_e32 v24, v37, v24
	v_fma_f32 v25, v25, s18, -v69
	v_add_f32_e32 v62, v62, v64
	v_add_f32_e32 v64, v38, v133
	v_fmac_f32_e32 v134, 0xbf7ee86f, v50
	v_add_f32_e32 v65, v66, v65
	v_fma_f32 v66, v20, s14, -v142
	v_fmac_f32_e32 v147, 0xbeb8f4ab, v49
	v_add_f32_e32 v24, v25, v24
	v_fma_f32 v20, v20, s8, -v31
	v_add_f32_e32 v64, v134, v64
	v_fmac_f32_e32 v135, 0xbf4c4adb, v51
	v_add_f32_e32 v65, v66, v65
	v_fma_f32 v66, v21, s15, -v143
	v_fmac_f32_e32 v150, 0xbf2c7751, v50
	v_add_f32_e32 v38, v38, v147
	v_add_f32_e32 v20, v20, v24
	v_fma_f32 v21, v21, s9, -v154
	v_add_f32_e32 v64, v135, v64
	v_fmac_f32_e32 v136, 0xbe3c28d5, v52
	v_add_f32_e32 v38, v150, v38
	v_fmac_f32_e32 v151, 0xbf65296c, v51
	v_add_f32_e32 v20, v21, v20
	v_fma_f32 v21, v22, s17, -v155
	v_add_f32_e32 v64, v136, v64
	v_fmac_f32_e32 v137, 0x3f06c442, v53
	v_add_f32_e32 v38, v151, v38
	v_fmac_f32_e32 v152, 0xbf7ee86f, v52
	v_add_f32_e32 v20, v21, v20
	v_fma_f32 v21, v23, s14, -v156
	v_add_f32_e32 v64, v137, v64
	v_fmac_f32_e32 v138, 0x3f763a35, v28
	v_add_f32_e32 v65, v66, v65
	v_fma_f32 v66, v22, s7, -v144
	;; [unrolled: 4-line block ×5, first 2 shown]
	v_add_f32_e32 v64, v139, v64
	v_add_f32_e32 v65, v66, v65
	v_fma_f32 v66, v56, s8, -v146
	v_fmac_f32_e32 v148, 0x3eb8f4ab, v55
	v_add_f32_e32 v28, v72, v38
	v_fmac_f32_e32 v153, 0xbf06c442, v54
	v_add_f32_e32 v37, v21, v20
	v_mul_u32_u24_e32 v20, 0x88, v36
	v_add_f32_e32 v66, v66, v65
	v_add_f32_e32 v65, v148, v64
	v_fma_f32 v64, v57, s16, -v149
	v_add_f32_e32 v28, v153, v28
	v_fmac_f32_e32 v158, 0xbe3c28d5, v55
	v_add3_u32 v20, 0, v20, v47
	v_add_f32_e32 v64, v64, v66
	v_add_f32_e32 v38, v158, v28
	ds_write2_b64 v20, v[0:1], v[26:27] offset1:1
	ds_write2_b64 v20, v[10:11], v[8:9] offset0:2 offset1:3
	ds_write2_b64 v20, v[6:7], v[4:5] offset0:4 offset1:5
	;; [unrolled: 1-line block ×7, first 2 shown]
	ds_write_b64 v20, v[37:38] offset:128
.LBB0_15:
	s_or_b64 exec, exec, s[2:3]
	s_load_dwordx2 s[2:3], s[4:5], 0x0
	s_movk_i32 s4, 0xf1
	v_mul_lo_u16_sdwa v0, v36, s4 dst_sel:DWORD dst_unused:UNUSED_PAD src0_sel:BYTE_0 src1_sel:DWORD
	v_add_u16_e32 v58, 0x66, v36
	v_lshrrev_b16_e32 v56, 12, v0
	v_mul_lo_u16_sdwa v1, v58, s4 dst_sel:DWORD dst_unused:UNUSED_PAD src0_sel:BYTE_0 src1_sel:DWORD
	v_mul_lo_u16_e32 v0, 17, v56
	v_lshrrev_b16_e32 v59, 12, v1
	v_sub_u16_e32 v57, v36, v0
	v_mov_b32_e32 v0, 4
	v_mul_lo_u16_e32 v1, 17, v59
	v_add_u32_e32 v55, 0xcc, v36
	v_lshlrev_b32_sdwa v8, v0, v57 dst_sel:DWORD dst_unused:UNUSED_PAD src0_sel:DWORD src1_sel:BYTE_0
	v_sub_u16_e32 v60, v58, v1
	s_mov_b32 s4, 0xf0f1
	s_waitcnt lgkmcnt(0)
	s_barrier
	v_lshlrev_b32_sdwa v9, v0, v60 dst_sel:DWORD dst_unused:UNUSED_PAD src0_sel:DWORD src1_sel:BYTE_0
	global_load_dwordx4 v[0:3], v8, s[12:13]
	global_load_dwordx4 v[4:7], v9, s[12:13]
	v_mul_u32_u24_sdwa v8, v55, s4 dst_sel:DWORD dst_unused:UNUSED_PAD src0_sel:WORD_0 src1_sel:DWORD
	v_lshrrev_b32_e32 v61, 20, v8
	v_mul_lo_u16_e32 v8, 17, v61
	v_add_u32_e32 v12, 0x132, v36
	v_sub_u16_e32 v62, v55, v8
	v_lshlrev_b32_e32 v8, 4, v62
	v_mul_u32_u24_sdwa v9, v12, s4 dst_sel:DWORD dst_unused:UNUSED_PAD src0_sel:WORD_0 src1_sel:DWORD
	v_lshrrev_b32_e32 v63, 20, v9
	global_load_dwordx4 v[8:11], v8, s[12:13]
	v_mul_lo_u16_e32 v13, 17, v63
	v_sub_u16_e32 v64, v12, v13
	v_lshlrev_b32_e32 v12, 4, v64
	global_load_dwordx4 v[12:15], v12, s[12:13]
	ds_read2_b64 v[16:19], v44 offset0:50 offset1:152
	v_add_u32_e32 v65, 0x1400, v42
	ds_read2_b64 v[20:23], v42 offset0:102 offset1:204
	ds_read2_b64 v[24:27], v48 offset0:126 offset1:228
	;; [unrolled: 1-line block ×4, first 2 shown]
	ds_read_b64 v[37:38], v40
	ds_read_b64 v[53:54], v42 offset:8976
	s_movk_i32 s4, 0x198
	s_waitcnt vmcnt(0) lgkmcnt(0)
	s_barrier
	v_cmp_gt_u32_e32 vcc, 51, v36
	v_mul_f32_e32 v66, v1, v19
	v_mul_f32_e32 v67, v3, v52
	v_mul_f32_e32 v1, v1, v18
	v_mul_f32_e32 v3, v3, v51
	v_fmac_f32_e32 v66, v0, v18
	v_fmac_f32_e32 v67, v2, v51
	v_mul_f32_e32 v68, v5, v25
	v_mul_f32_e32 v5, v5, v24
	;; [unrolled: 1-line block ×3, first 2 shown]
	v_fma_f32 v0, v0, v19, -v1
	v_fma_f32 v1, v2, v52, -v3
	v_add_f32_e32 v3, v66, v67
	v_mul_f32_e32 v7, v7, v28
	v_fmac_f32_e32 v68, v4, v24
	v_fma_f32 v18, v4, v25, -v5
	v_fmac_f32_e32 v69, v6, v28
	v_add_f32_e32 v2, v37, v66
	v_add_f32_e32 v4, v38, v0
	;; [unrolled: 1-line block ×3, first 2 shown]
	v_fma_f32 v37, -0.5, v3, v37
	v_mul_f32_e32 v70, v27, v9
	v_mul_f32_e32 v9, v26, v9
	v_fma_f32 v7, v6, v29, -v7
	v_sub_f32_e32 v6, v0, v1
	v_add_f32_e32 v1, v4, v1
	v_fmac_f32_e32 v38, -0.5, v5
	v_mov_b32_e32 v4, v37
	v_add_f32_e32 v3, v68, v69
	v_fmac_f32_e32 v70, v26, v8
	v_fma_f32 v19, v27, v8, -v9
	v_sub_f32_e32 v8, v66, v67
	v_fmac_f32_e32 v37, 0x3f5db3d7, v6
	v_mov_b32_e32 v5, v38
	v_fmac_f32_e32 v4, 0xbf5db3d7, v6
	v_fma_f32 v6, -0.5, v3, v20
	v_fmac_f32_e32 v38, 0xbf5db3d7, v8
	v_fmac_f32_e32 v5, 0x3f5db3d7, v8
	v_sub_f32_e32 v3, v18, v7
	v_mov_b32_e32 v8, v6
	v_fmac_f32_e32 v8, 0xbf5db3d7, v3
	v_fmac_f32_e32 v6, 0x3f5db3d7, v3
	v_add_f32_e32 v3, v21, v18
	v_mul_f32_e32 v71, v31, v11
	v_add_f32_e32 v3, v3, v7
	v_add_f32_e32 v7, v18, v7
	v_mul_f32_e32 v11, v30, v11
	v_fmac_f32_e32 v71, v30, v10
	v_add_f32_e32 v9, v20, v68
	v_fma_f32 v7, -0.5, v7, v21
	v_fma_f32 v24, v31, v10, -v11
	v_add_f32_e32 v0, v2, v67
	v_add_f32_e32 v2, v9, v69
	v_sub_f32_e32 v10, v68, v69
	v_mov_b32_e32 v9, v7
	v_add_f32_e32 v11, v70, v71
	v_mul_f32_e32 v72, v50, v13
	v_mul_f32_e32 v13, v49, v13
	v_fmac_f32_e32 v9, 0x3f5db3d7, v10
	v_fmac_f32_e32 v7, 0xbf5db3d7, v10
	v_add_f32_e32 v10, v22, v70
	v_fma_f32 v22, -0.5, v11, v22
	v_mul_f32_e32 v73, v54, v15
	v_fmac_f32_e32 v72, v49, v12
	v_fma_f32 v25, v50, v12, -v13
	v_sub_f32_e32 v11, v19, v24
	v_mov_b32_e32 v12, v22
	v_add_f32_e32 v13, v19, v24
	v_mul_f32_e32 v15, v53, v15
	v_fmac_f32_e32 v73, v53, v14
	v_fmac_f32_e32 v12, 0xbf5db3d7, v11
	;; [unrolled: 1-line block ×3, first 2 shown]
	v_add_f32_e32 v11, v23, v19
	v_fmac_f32_e32 v23, -0.5, v13
	v_fma_f32 v26, v54, v14, -v15
	v_sub_f32_e32 v14, v70, v71
	v_mov_b32_e32 v13, v23
	v_add_f32_e32 v15, v72, v73
	v_fmac_f32_e32 v13, 0x3f5db3d7, v14
	v_fmac_f32_e32 v23, 0xbf5db3d7, v14
	v_add_f32_e32 v14, v16, v72
	v_fma_f32 v16, -0.5, v15, v16
	v_sub_f32_e32 v15, v25, v26
	v_mov_b32_e32 v18, v16
	v_add_f32_e32 v19, v25, v26
	v_fmac_f32_e32 v18, 0xbf5db3d7, v15
	v_fmac_f32_e32 v16, 0x3f5db3d7, v15
	v_add_f32_e32 v15, v17, v25
	v_fmac_f32_e32 v17, -0.5, v19
	v_sub_f32_e32 v20, v72, v73
	v_mov_b32_e32 v19, v17
	v_mov_b32_e32 v66, 3
	v_fmac_f32_e32 v19, 0x3f5db3d7, v20
	v_fmac_f32_e32 v17, 0xbf5db3d7, v20
	v_mad_u32_u24 v20, v56, s4, 0
	v_lshlrev_b32_sdwa v21, v66, v57 dst_sel:DWORD dst_unused:UNUSED_PAD src0_sel:DWORD src1_sel:BYTE_0
	v_add3_u32 v20, v20, v21, v47
	ds_write2_b64 v20, v[0:1], v[4:5] offset1:17
	ds_write_b64 v20, v[37:38] offset:272
	v_mad_u32_u24 v0, v59, s4, 0
	v_lshlrev_b32_sdwa v1, v66, v60 dst_sel:DWORD dst_unused:UNUSED_PAD src0_sel:DWORD src1_sel:BYTE_0
	v_add3_u32 v0, v0, v1, v47
	ds_write2_b64 v0, v[2:3], v[8:9] offset1:17
	ds_write_b64 v0, v[6:7] offset:272
	v_mad_u32_u24 v0, v61, s4, 0
	v_lshlrev_b32_e32 v1, 3, v62
	v_add_f32_e32 v10, v10, v71
	v_add_f32_e32 v11, v11, v24
	v_add3_u32 v0, v0, v1, v47
	ds_write2_b64 v0, v[10:11], v[12:13] offset1:17
	ds_write_b64 v0, v[22:23] offset:272
	v_mad_u32_u24 v0, v63, s4, 0
	v_lshlrev_b32_e32 v1, 3, v64
	v_add_f32_e32 v14, v14, v73
	v_add_f32_e32 v15, v15, v26
	v_add3_u32 v0, v0, v1, v47
	ds_write2_b64 v0, v[14:15], v[18:19] offset1:17
	ds_write_b64 v0, v[16:17] offset:272
	v_subrev_u32_e32 v0, 51, v36
	v_cndmask_b32_e32 v59, v0, v36, vcc
	v_mul_i32_i24_e32 v0, 3, v59
	v_mov_b32_e32 v1, 0
	v_lshlrev_b64 v[2:3], 3, v[0:1]
	v_mov_b32_e32 v0, s13
	v_add_co_u32_e32 v6, vcc, s12, v2
	v_addc_co_u32_e32 v7, vcc, v0, v3, vcc
	s_movk_i32 s4, 0xa1
	s_waitcnt lgkmcnt(0)
	s_barrier
	global_load_dwordx4 v[2:5], v[6:7], off offset:272
	global_load_dwordx2 v[30:31], v[6:7], off offset:288
	v_mul_lo_u16_sdwa v6, v58, s4 dst_sel:DWORD dst_unused:UNUSED_PAD src0_sel:BYTE_0 src1_sel:DWORD
	v_lshrrev_b16_e32 v60, 13, v6
	v_mul_lo_u16_e32 v6, 51, v60
	v_sub_u16_e32 v61, v58, v6
	v_mul_u32_u24_sdwa v6, v61, v66 dst_sel:DWORD dst_unused:UNUSED_PAD src0_sel:BYTE_0 src1_sel:DWORD
	v_lshlrev_b32_e32 v10, 3, v6
	s_mov_b32 s4, 0xa0a1
	global_load_dwordx4 v[6:9], v10, s[12:13] offset:272
	global_load_dwordx2 v[37:38], v10, s[12:13] offset:288
	v_mul_u32_u24_sdwa v10, v55, s4 dst_sel:DWORD dst_unused:UNUSED_PAD src0_sel:WORD_0 src1_sel:DWORD
	v_lshrrev_b32_e32 v62, 21, v10
	v_mul_lo_u16_e32 v10, 51, v62
	v_sub_u16_e32 v63, v55, v10
	v_mul_u32_u24_e32 v10, 3, v63
	v_lshlrev_b32_e32 v14, 3, v10
	global_load_dwordx4 v[10:13], v14, s[12:13] offset:272
	global_load_dwordx2 v[53:54], v14, s[12:13] offset:288
	ds_read2_b64 v[14:17], v44 offset0:50 offset1:152
	ds_read2_b64 v[18:21], v48 offset0:126 offset1:228
	;; [unrolled: 1-line block ×5, first 2 shown]
	ds_read_b64 v[55:56], v40
	ds_read_b64 v[57:58], v42 offset:8976
	v_cmp_lt_u32_e32 vcc, 50, v36
	s_movk_i32 s4, 0x660
	s_waitcnt vmcnt(0) lgkmcnt(0)
	s_barrier
	v_mul_f32_e32 v64, v3, v15
	v_mul_f32_e32 v3, v3, v14
	v_fmac_f32_e32 v64, v2, v14
	v_fma_f32 v2, v2, v15, -v3
	v_mul_f32_e32 v3, v5, v21
	v_mul_f32_e32 v5, v5, v20
	v_fmac_f32_e32 v3, v4, v20
	v_fma_f32 v4, v4, v21, -v5
	;; [unrolled: 4-line block ×3, first 2 shown]
	v_mul_f32_e32 v6, v9, v49
	v_mul_f32_e32 v5, v31, v23
	;; [unrolled: 1-line block ×3, first 2 shown]
	v_fma_f32 v20, v8, v50, -v6
	v_mul_f32_e32 v6, v24, v38
	v_fmac_f32_e32 v5, v30, v22
	v_fma_f32 v14, v30, v23, -v14
	v_fma_f32 v22, v25, v37, -v6
	v_mul_f32_e32 v23, v19, v11
	v_mul_f32_e32 v6, v18, v11
	;; [unrolled: 1-line block ×4, first 2 shown]
	v_fmac_f32_e32 v23, v18, v10
	v_fma_f32 v18, v19, v10, -v6
	v_mul_f32_e32 v6, v51, v13
	v_fmac_f32_e32 v17, v8, v49
	v_fmac_f32_e32 v21, v24, v37
	v_fma_f32 v24, v52, v12, -v6
	v_mul_f32_e32 v6, v57, v54
	v_sub_f32_e32 v8, v55, v3
	v_sub_f32_e32 v9, v56, v4
	;; [unrolled: 1-line block ×4, first 2 shown]
	v_mul_f32_e32 v19, v52, v13
	v_mul_f32_e32 v25, v58, v54
	v_fma_f32 v30, v58, v53, -v6
	v_fma_f32 v4, v55, 2.0, -v8
	v_fma_f32 v6, v56, 2.0, -v9
	;; [unrolled: 1-line block ×4, first 2 shown]
	v_fmac_f32_e32 v19, v51, v12
	v_fmac_f32_e32 v25, v57, v53
	v_sub_f32_e32 v2, v4, v3
	v_sub_f32_e32 v3, v6, v5
	v_sub_f32_e32 v17, v26, v17
	v_sub_f32_e32 v20, v27, v20
	v_sub_f32_e32 v21, v15, v21
	v_sub_f32_e32 v14, v16, v22
	v_fma_f32 v5, v6, 2.0, -v3
	v_add_f32_e32 v6, v8, v10
	v_fma_f32 v12, v26, 2.0, -v17
	v_fma_f32 v13, v27, 2.0, -v20
	;; [unrolled: 1-line block ×4, first 2 shown]
	v_add_f32_e32 v14, v17, v14
	v_sub_f32_e32 v15, v20, v21
	v_sub_f32_e32 v26, v28, v19
	;; [unrolled: 1-line block ×5, first 2 shown]
	v_fma_f32 v16, v17, 2.0, -v14
	v_fma_f32 v17, v20, 2.0, -v15
	;; [unrolled: 1-line block ×6, first 2 shown]
	v_add_f32_e32 v22, v26, v22
	v_sub_f32_e32 v18, v20, v19
	v_sub_f32_e32 v19, v21, v23
	;; [unrolled: 1-line block ×3, first 2 shown]
	v_fma_f32 v24, v26, 2.0, -v22
	v_mov_b32_e32 v26, 0x660
	v_cndmask_b32_e32 v26, 0, v26, vcc
	v_sub_f32_e32 v7, v9, v7
	v_fma_f32 v25, v27, 2.0, -v23
	v_add_u32_e32 v26, 0, v26
	v_lshlrev_b32_e32 v27, 3, v59
	v_fma_f32 v4, v4, 2.0, -v2
	v_fma_f32 v8, v8, 2.0, -v6
	;; [unrolled: 1-line block ×3, first 2 shown]
	v_add3_u32 v26, v26, v27, v47
	v_sub_f32_e32 v10, v12, v10
	v_sub_f32_e32 v11, v13, v11
	ds_write2_b64 v26, v[4:5], v[8:9] offset1:51
	ds_write2_b64 v26, v[2:3], v[6:7] offset0:102 offset1:153
	v_mad_u32_u24 v2, v60, s4, 0
	v_lshlrev_b32_sdwa v3, v66, v61 dst_sel:DWORD dst_unused:UNUSED_PAD src0_sel:DWORD src1_sel:BYTE_0
	v_fma_f32 v12, v12, 2.0, -v10
	v_fma_f32 v13, v13, 2.0, -v11
	v_add3_u32 v2, v2, v3, v47
	ds_write2_b64 v2, v[12:13], v[16:17] offset1:51
	ds_write2_b64 v2, v[10:11], v[14:15] offset0:102 offset1:153
	v_mad_u32_u24 v2, v62, s4, 0
	v_lshlrev_b32_e32 v3, 3, v63
	v_fma_f32 v20, v20, 2.0, -v18
	v_fma_f32 v21, v21, 2.0, -v19
	v_add3_u32 v2, v2, v3, v47
	ds_write2_b64 v2, v[20:21], v[24:25] offset1:51
	ds_write2_b64 v2, v[18:19], v[22:23] offset0:102 offset1:153
	v_mul_u32_u24_e32 v2, 5, v36
	v_lshlrev_b32_e32 v10, 3, v2
	v_add_co_u32_e32 v14, vcc, s12, v10
	s_waitcnt lgkmcnt(0)
	s_barrier
	global_load_dwordx4 v[2:5], v10, s[12:13] offset:1496
	global_load_dwordx4 v[6:9], v10, s[12:13] offset:1512
	v_addc_co_u32_e32 v0, vcc, 0, v0, vcc
	global_load_dwordx2 v[30:31], v10, s[12:13] offset:1528
	v_add_co_u32_e32 v10, vcc, s6, v14
	v_addc_co_u32_e32 v11, vcc, 0, v0, vcc
	global_load_dwordx4 v[10:13], v[10:11], off offset:1480
	s_movk_i32 s4, 0x15c8
	v_add_co_u32_e32 v18, vcc, s4, v14
	v_addc_co_u32_e32 v19, vcc, 0, v0, vcc
	global_load_dwordx4 v[14:17], v[18:19], off offset:16
	global_load_dwordx2 v[37:38], v[18:19], off offset:32
	ds_read2_b64 v[18:21], v42 offset0:102 offset1:204
	ds_read2_b64 v[22:25], v44 offset0:50 offset1:152
	;; [unrolled: 1-line block ×5, first 2 shown]
	ds_read_b64 v[55:56], v40
	ds_read_b64 v[57:58], v42 offset:8976
	s_waitcnt vmcnt(0) lgkmcnt(0)
	s_barrier
	s_add_u32 s6, s12, 0x25b8
	s_addc_u32 s7, s13, 0
	v_cmp_ne_u32_e32 vcc, 0, v36
	v_mul_f32_e32 v0, v3, v21
	v_mul_f32_e32 v3, v3, v20
	v_fmac_f32_e32 v0, v2, v20
	v_fma_f32 v20, v2, v21, -v3
	v_mul_f32_e32 v2, v5, v25
	v_mul_f32_e32 v3, v5, v24
	v_fmac_f32_e32 v2, v4, v24
	v_fma_f32 v3, v4, v25, -v3
	;; [unrolled: 4-line block ×3, first 2 shown]
	v_mul_f32_e32 v6, v9, v50
	v_fmac_f32_e32 v6, v8, v49
	v_mul_f32_e32 v21, v23, v11
	v_mul_f32_e32 v11, v22, v11
	;; [unrolled: 1-line block ×3, first 2 shown]
	v_fmac_f32_e32 v21, v22, v10
	v_fma_f32 v22, v23, v10, -v11
	v_add_f32_e32 v11, v2, v6
	v_fma_f32 v7, v8, v50, -v7
	v_mul_f32_e32 v23, v27, v13
	v_mul_f32_e32 v10, v26, v13
	v_fma_f32 v11, -0.5, v11, v55
	v_fmac_f32_e32 v23, v26, v12
	v_fma_f32 v24, v27, v12, -v10
	v_mul_f32_e32 v25, v48, v15
	v_mul_f32_e32 v10, v47, v15
	v_sub_f32_e32 v12, v3, v7
	v_mov_b32_e32 v13, v11
	v_fmac_f32_e32 v25, v47, v14
	v_fma_f32 v14, v48, v14, -v10
	v_mul_f32_e32 v15, v52, v17
	v_mul_f32_e32 v10, v51, v17
	v_fmac_f32_e32 v13, 0xbf5db3d7, v12
	v_fmac_f32_e32 v11, 0x3f5db3d7, v12
	v_add_f32_e32 v12, v56, v3
	v_add_f32_e32 v3, v3, v7
	v_fmac_f32_e32 v15, v51, v16
	v_fma_f32 v16, v52, v16, -v10
	v_mul_f32_e32 v10, v57, v38
	v_fmac_f32_e32 v56, -0.5, v3
	v_mul_f32_e32 v8, v31, v54
	v_fma_f32 v26, v58, v37, -v10
	v_add_f32_e32 v10, v55, v2
	v_sub_f32_e32 v2, v2, v6
	v_mov_b32_e32 v28, v56
	v_fmac_f32_e32 v8, v30, v53
	v_fmac_f32_e32 v28, 0x3f5db3d7, v2
	;; [unrolled: 1-line block ×3, first 2 shown]
	v_add_f32_e32 v2, v0, v4
	v_mul_f32_e32 v9, v31, v53
	v_add_f32_e32 v27, v12, v7
	v_add_f32_e32 v12, v2, v8
	;; [unrolled: 1-line block ×3, first 2 shown]
	v_fma_f32 v9, v30, v54, -v9
	v_fmac_f32_e32 v0, -0.5, v2
	v_sub_f32_e32 v2, v5, v9
	v_mov_b32_e32 v7, v0
	v_fmac_f32_e32 v7, 0xbf5db3d7, v2
	v_fmac_f32_e32 v0, 0x3f5db3d7, v2
	v_add_f32_e32 v2, v20, v5
	v_add_f32_e32 v29, v2, v9
	;; [unrolled: 1-line block ×3, first 2 shown]
	v_fmac_f32_e32 v20, -0.5, v2
	v_sub_f32_e32 v2, v4, v8
	v_mov_b32_e32 v5, v20
	v_fmac_f32_e32 v5, 0x3f5db3d7, v2
	v_fmac_f32_e32 v20, 0xbf5db3d7, v2
	v_mul_f32_e32 v9, 0xbf5db3d7, v5
	v_mul_f32_e32 v30, 0xbf5db3d7, v20
	v_mul_f32_e32 v20, -0.5, v20
	v_add_f32_e32 v10, v10, v6
	v_fmac_f32_e32 v9, 0.5, v7
	v_mul_f32_e32 v31, 0.5, v5
	v_fmac_f32_e32 v20, 0x3f5db3d7, v0
	v_add_f32_e32 v2, v10, v12
	v_add_f32_e32 v4, v13, v9
	v_fmac_f32_e32 v31, 0x3f5db3d7, v7
	v_add_f32_e32 v7, v56, v20
	v_sub_f32_e32 v8, v10, v12
	v_sub_f32_e32 v10, v13, v9
	;; [unrolled: 1-line block ×3, first 2 shown]
	v_add_f32_e32 v20, v23, v15
	v_fmac_f32_e32 v30, -0.5, v0
	v_add_f32_e32 v0, v18, v23
	v_fma_f32 v18, -0.5, v20, v18
	v_add_f32_e32 v3, v27, v29
	v_sub_f32_e32 v9, v27, v29
	v_sub_f32_e32 v20, v24, v16
	v_mov_b32_e32 v27, v18
	v_fmac_f32_e32 v27, 0xbf5db3d7, v20
	v_fmac_f32_e32 v18, 0x3f5db3d7, v20
	v_add_f32_e32 v20, v19, v24
	v_add_f32_e32 v6, v11, v30
	;; [unrolled: 1-line block ×3, first 2 shown]
	v_sub_f32_e32 v12, v11, v30
	v_sub_f32_e32 v11, v28, v31
	v_add_f32_e32 v28, v20, v16
	v_add_f32_e32 v16, v24, v16
	v_fmac_f32_e32 v19, -0.5, v16
	v_mul_f32_e32 v17, v58, v38
	v_add_f32_e32 v0, v0, v15
	v_sub_f32_e32 v15, v23, v15
	v_mov_b32_e32 v29, v19
	v_fmac_f32_e32 v17, v57, v37
	v_fmac_f32_e32 v29, 0x3f5db3d7, v15
	;; [unrolled: 1-line block ×3, first 2 shown]
	v_add_f32_e32 v15, v21, v25
	v_add_f32_e32 v23, v15, v17
	;; [unrolled: 1-line block ×3, first 2 shown]
	v_fmac_f32_e32 v21, -0.5, v15
	v_sub_f32_e32 v15, v14, v26
	v_mov_b32_e32 v24, v21
	v_fmac_f32_e32 v24, 0xbf5db3d7, v15
	v_fmac_f32_e32 v21, 0x3f5db3d7, v15
	v_add_f32_e32 v15, v22, v14
	v_add_f32_e32 v14, v14, v26
	v_fmac_f32_e32 v22, -0.5, v14
	v_sub_f32_e32 v14, v25, v17
	v_mov_b32_e32 v17, v22
	v_fmac_f32_e32 v22, 0xbf5db3d7, v14
	v_add_f32_e32 v30, v15, v26
	v_fmac_f32_e32 v17, 0x3f5db3d7, v14
	v_mul_f32_e32 v26, 0xbf5db3d7, v22
	v_mul_f32_e32 v37, -0.5, v22
	v_mul_f32_e32 v25, 0xbf5db3d7, v17
	v_fmac_f32_e32 v26, -0.5, v21
	v_mul_f32_e32 v31, 0.5, v17
	v_fmac_f32_e32 v37, 0x3f5db3d7, v21
	v_add_f32_e32 v14, v0, v23
	v_fmac_f32_e32 v25, 0.5, v24
	v_add_f32_e32 v20, v18, v26
	v_add_f32_e32 v15, v28, v30
	v_fmac_f32_e32 v31, 0x3f5db3d7, v24
	v_add_f32_e32 v21, v19, v37
	v_sub_f32_e32 v22, v0, v23
	v_sub_f32_e32 v18, v18, v26
	;; [unrolled: 1-line block ×3, first 2 shown]
	v_add_u32_e32 v0, 0x1c00, v42
	v_add_f32_e32 v16, v27, v25
	v_add_f32_e32 v17, v29, v31
	v_sub_f32_e32 v24, v27, v25
	v_sub_f32_e32 v23, v28, v30
	;; [unrolled: 1-line block ×3, first 2 shown]
	ds_write2_b64 v42, v[2:3], v[14:15] offset1:102
	ds_write2_b64 v43, v[4:5], v[16:17] offset0:76 offset1:178
	ds_write2_b64 v44, v[6:7], v[20:21] offset0:152 offset1:254
	;; [unrolled: 1-line block ×5, first 2 shown]
	s_waitcnt lgkmcnt(0)
	s_barrier
	ds_read_b64 v[2:3], v40
	v_sub_u32_e32 v6, v39, v41
                                        ; implicit-def: $vgpr0
                                        ; implicit-def: $vgpr7
                                        ; implicit-def: $vgpr8
                                        ; implicit-def: $vgpr4_vgpr5
	s_and_saveexec_b64 s[4:5], vcc
	s_xor_b64 s[4:5], exec, s[4:5]
	s_cbranch_execz .LBB0_17
; %bb.16:
	v_mov_b32_e32 v37, v1
	v_lshlrev_b64 v[0:1], 3, v[36:37]
	v_mov_b32_e32 v4, s7
	v_add_co_u32_e32 v0, vcc, s6, v0
	v_addc_co_u32_e32 v1, vcc, v4, v1, vcc
	global_load_dwordx2 v[0:1], v[0:1], off
	ds_read_b64 v[4:5], v6 offset:9792
	s_waitcnt lgkmcnt(0)
	v_add_f32_e32 v9, v4, v2
	v_sub_f32_e32 v2, v2, v4
	v_add_f32_e32 v7, v5, v3
	v_sub_f32_e32 v3, v3, v5
	v_mul_f32_e32 v2, 0.5, v2
	v_mul_f32_e32 v4, 0.5, v7
	;; [unrolled: 1-line block ×3, first 2 shown]
	s_waitcnt vmcnt(0)
	v_mul_f32_e32 v5, v1, v2
	v_fma_f32 v8, v4, v1, v3
	v_fma_f32 v1, v4, v1, -v3
	v_fma_f32 v7, 0.5, v9, v5
	v_fma_f32 v3, v9, 0.5, -v5
	v_fma_f32 v8, -v0, v2, v8
	v_fma_f32 v1, -v0, v2, v1
	v_fmac_f32_e32 v7, v0, v4
	v_fma_f32 v0, -v0, v4, v3
	v_mov_b32_e32 v4, v36
	v_mov_b32_e32 v5, v37
                                        ; implicit-def: $vgpr2_vgpr3
.LBB0_17:
	s_andn2_saveexec_b64 s[4:5], s[4:5]
	s_cbranch_execz .LBB0_19
; %bb.18:
	ds_read_b32 v1, v39 offset:4900
	v_mov_b32_e32 v4, 0
	s_waitcnt lgkmcnt(1)
	v_add_f32_e32 v7, v2, v3
	v_sub_f32_e32 v0, v2, v3
	v_mov_b32_e32 v5, 0
	s_waitcnt lgkmcnt(0)
	v_xor_b32_e32 v1, 0x80000000, v1
	v_mov_b32_e32 v8, 0
	ds_write_b32 v39, v1 offset:4900
	v_mov_b32_e32 v1, 0
.LBB0_19:
	s_or_b64 exec, exec, s[4:5]
	s_waitcnt lgkmcnt(0)
	v_lshlrev_b64 v[2:3], 3, v[4:5]
	v_mov_b32_e32 v4, s7
	v_add_co_u32_e32 v2, vcc, s6, v2
	v_addc_co_u32_e32 v3, vcc, v4, v3, vcc
	global_load_dwordx2 v[4:5], v[2:3], off offset:816
	global_load_dwordx2 v[9:10], v[2:3], off offset:1632
	;; [unrolled: 1-line block ×3, first 2 shown]
	ds_write2_b32 v40, v7, v8 offset1:1
	ds_write_b64 v6, v[0:1] offset:9792
	ds_read_b64 v[0:1], v40 offset:816
	ds_read_b64 v[7:8], v6 offset:8976
	global_load_dwordx2 v[13:14], v[2:3], off offset:3264
	s_waitcnt lgkmcnt(0)
	v_add_f32_e32 v15, v0, v7
	v_sub_f32_e32 v0, v0, v7
	v_add_f32_e32 v16, v1, v8
	v_sub_f32_e32 v1, v1, v8
	v_mul_f32_e32 v0, 0.5, v0
	v_mul_f32_e32 v7, 0.5, v16
	;; [unrolled: 1-line block ×3, first 2 shown]
	s_waitcnt vmcnt(3)
	v_mul_f32_e32 v8, v5, v0
	v_fma_f32 v16, v7, v5, v1
	v_fma_f32 v1, v7, v5, -v1
	v_fma_f32 v5, 0.5, v15, v8
	v_fma_f32 v16, -v4, v0, v16
	v_fma_f32 v8, v15, 0.5, -v8
	v_fmac_f32_e32 v5, v4, v7
	v_fma_f32 v1, -v4, v0, v1
	v_fma_f32 v0, -v4, v7, v8
	ds_write2_b32 v40, v5, v16 offset0:204 offset1:205
	ds_write_b64 v6, v[0:1] offset:8976
	ds_read_b64 v[0:1], v40 offset:1632
	ds_read_b64 v[4:5], v6 offset:8160
	global_load_dwordx2 v[2:3], v[2:3], off offset:4080
	v_add_u32_e32 v7, 0x400, v40
	s_waitcnt lgkmcnt(0)
	v_add_f32_e32 v8, v0, v4
	v_sub_f32_e32 v0, v0, v4
	v_add_f32_e32 v15, v1, v5
	v_sub_f32_e32 v1, v1, v5
	v_mul_f32_e32 v0, 0.5, v0
	v_mul_f32_e32 v4, 0.5, v15
	;; [unrolled: 1-line block ×3, first 2 shown]
	s_waitcnt vmcnt(3)
	v_mul_f32_e32 v5, v10, v0
	v_fma_f32 v15, v4, v10, v1
	v_fma_f32 v1, v4, v10, -v1
	v_fma_f32 v10, 0.5, v8, v5
	v_fma_f32 v15, -v9, v0, v15
	v_fma_f32 v5, v8, 0.5, -v5
	v_fmac_f32_e32 v10, v9, v4
	v_fma_f32 v1, -v9, v0, v1
	v_fma_f32 v0, -v9, v4, v5
	ds_write2_b32 v7, v10, v15 offset0:152 offset1:153
	ds_write_b64 v6, v[0:1] offset:8160
	ds_read_b64 v[0:1], v40 offset:2448
	ds_read_b64 v[4:5], v6 offset:7344
	v_add_u32_e32 v7, 0x800, v40
	s_waitcnt lgkmcnt(0)
	v_add_f32_e32 v8, v0, v4
	v_sub_f32_e32 v0, v0, v4
	v_add_f32_e32 v9, v1, v5
	v_sub_f32_e32 v1, v1, v5
	v_mul_f32_e32 v0, 0.5, v0
	v_mul_f32_e32 v4, 0.5, v9
	;; [unrolled: 1-line block ×3, first 2 shown]
	s_waitcnt vmcnt(2)
	v_mul_f32_e32 v5, v12, v0
	v_fma_f32 v9, v4, v12, v1
	v_fma_f32 v10, 0.5, v8, v5
	v_fma_f32 v1, v4, v12, -v1
	v_fma_f32 v9, -v11, v0, v9
	v_fma_f32 v5, v8, 0.5, -v5
	v_fmac_f32_e32 v10, v11, v4
	v_fma_f32 v1, -v11, v0, v1
	v_fma_f32 v0, -v11, v4, v5
	ds_write2_b32 v7, v10, v9 offset0:100 offset1:101
	ds_write_b64 v6, v[0:1] offset:7344
	ds_read_b64 v[0:1], v40 offset:3264
	ds_read_b64 v[4:5], v6 offset:6528
	v_add_u32_e32 v7, 0xc00, v40
	s_waitcnt lgkmcnt(0)
	v_add_f32_e32 v8, v0, v4
	v_sub_f32_e32 v0, v0, v4
	v_add_f32_e32 v9, v1, v5
	v_sub_f32_e32 v1, v1, v5
	v_mul_f32_e32 v0, 0.5, v0
	v_mul_f32_e32 v4, 0.5, v9
	;; [unrolled: 1-line block ×3, first 2 shown]
	s_waitcnt vmcnt(1)
	v_mul_f32_e32 v5, v14, v0
	v_fma_f32 v9, v4, v14, v1
	v_fma_f32 v10, 0.5, v8, v5
	v_fma_f32 v1, v4, v14, -v1
	v_fma_f32 v9, -v13, v0, v9
	v_fma_f32 v5, v8, 0.5, -v5
	v_fmac_f32_e32 v10, v13, v4
	v_fma_f32 v1, -v13, v0, v1
	v_fma_f32 v0, -v13, v4, v5
	ds_write2_b32 v7, v10, v9 offset0:48 offset1:49
	ds_write_b64 v6, v[0:1] offset:6528
	ds_read_b64 v[0:1], v40 offset:4080
	ds_read_b64 v[4:5], v6 offset:5712
	s_waitcnt lgkmcnt(0)
	v_add_f32_e32 v8, v0, v4
	v_sub_f32_e32 v0, v0, v4
	v_add_f32_e32 v9, v1, v5
	v_sub_f32_e32 v1, v1, v5
	v_mul_f32_e32 v0, 0.5, v0
	v_mul_f32_e32 v4, 0.5, v9
	;; [unrolled: 1-line block ×3, first 2 shown]
	s_waitcnt vmcnt(0)
	v_mul_f32_e32 v5, v3, v0
	v_fma_f32 v9, v4, v3, v1
	v_fma_f32 v1, v4, v3, -v1
	v_fma_f32 v3, 0.5, v8, v5
	v_fma_f32 v9, -v2, v0, v9
	v_fma_f32 v5, v8, 0.5, -v5
	v_fmac_f32_e32 v3, v2, v4
	v_fma_f32 v1, -v2, v0, v1
	v_fma_f32 v0, -v2, v4, v5
	ds_write2_b32 v7, v3, v9 offset0:252 offset1:253
	ds_write_b64 v6, v[0:1] offset:5712
	s_waitcnt lgkmcnt(0)
	s_barrier
	s_and_saveexec_b64 s[4:5], s[0:1]
	s_cbranch_execz .LBB0_22
; %bb.20:
	v_mul_lo_u32 v0, s3, v34
	v_mul_lo_u32 v3, s2, v35
	v_mad_u64_u32 v[1:2], s[0:1], s2, v34, 0
	v_mov_b32_e32 v7, s11
	v_mov_b32_e32 v37, 0
	v_add3_u32 v2, v2, v3, v0
	v_lshlrev_b64 v[1:2], 3, v[1:2]
	v_lshl_add_u32 v0, v36, 3, v39
	v_add_co_u32_e32 v1, vcc, s10, v1
	v_addc_co_u32_e32 v9, vcc, v7, v2, vcc
	v_lshlrev_b64 v[7:8], 3, v[32:33]
	ds_read2_b64 v[3:6], v0 offset1:102
	v_add_co_u32_e32 v2, vcc, v1, v7
	v_addc_co_u32_e32 v1, vcc, v9, v8, vcc
	v_lshlrev_b64 v[7:8], 3, v[36:37]
	s_movk_i32 s0, 0x65
	v_add_co_u32_e32 v7, vcc, v2, v7
	v_addc_co_u32_e32 v8, vcc, v1, v8, vcc
	s_waitcnt lgkmcnt(0)
	global_store_dwordx2 v[7:8], v[3:4], off
	v_add_u32_e32 v3, 0x66, v36
	v_mov_b32_e32 v4, v37
	v_lshlrev_b64 v[3:4], 3, v[3:4]
	v_add_u32_e32 v7, 0xcc, v36
	v_add_co_u32_e32 v3, vcc, v2, v3
	v_addc_co_u32_e32 v4, vcc, v1, v4, vcc
	global_store_dwordx2 v[3:4], v[5:6], off
	v_add_u32_e32 v3, 0x400, v0
	v_mov_b32_e32 v8, v37
	ds_read2_b64 v[3:6], v3 offset0:76 offset1:178
	v_lshlrev_b64 v[7:8], 3, v[7:8]
	v_add_co_u32_e32 v7, vcc, v2, v7
	v_addc_co_u32_e32 v8, vcc, v1, v8, vcc
	s_waitcnt lgkmcnt(0)
	global_store_dwordx2 v[7:8], v[3:4], off
	v_add_u32_e32 v3, 0x132, v36
	v_mov_b32_e32 v4, v37
	v_lshlrev_b64 v[3:4], 3, v[3:4]
	v_add_u32_e32 v7, 0x198, v36
	v_add_co_u32_e32 v3, vcc, v2, v3
	v_addc_co_u32_e32 v4, vcc, v1, v4, vcc
	global_store_dwordx2 v[3:4], v[5:6], off
	v_add_u32_e32 v3, 0x800, v0
	v_mov_b32_e32 v8, v37
	ds_read2_b64 v[3:6], v3 offset0:152 offset1:254
	v_lshlrev_b64 v[7:8], 3, v[7:8]
	;; [unrolled: 15-line block ×5, first 2 shown]
	v_add_co_u32_e32 v7, vcc, v2, v7
	v_addc_co_u32_e32 v8, vcc, v1, v8, vcc
	s_waitcnt lgkmcnt(0)
	global_store_dwordx2 v[7:8], v[3:4], off
	v_add_u32_e32 v3, 0x462, v36
	v_mov_b32_e32 v4, v37
	v_lshlrev_b64 v[3:4], 3, v[3:4]
	v_add_co_u32_e32 v3, vcc, v2, v3
	v_addc_co_u32_e32 v4, vcc, v1, v4, vcc
	v_cmp_eq_u32_e32 vcc, s0, v36
	global_store_dwordx2 v[3:4], v[5:6], off
	s_and_b64 exec, exec, vcc
	s_cbranch_execz .LBB0_22
; %bb.21:
	ds_read_b64 v[3:4], v0 offset:8984
	v_add_co_u32_e32 v0, vcc, 0x2000, v2
	v_addc_co_u32_e32 v1, vcc, 0, v1, vcc
	s_waitcnt lgkmcnt(0)
	global_store_dwordx2 v[0:1], v[3:4], off offset:1600
.LBB0_22:
	s_endpgm
	.section	.rodata,"a",@progbits
	.p2align	6, 0x0
	.amdhsa_kernel fft_rtc_back_len1224_factors_17_3_4_6_wgs_204_tpt_102_halfLds_sp_op_CI_CI_unitstride_sbrr_R2C_dirReg
		.amdhsa_group_segment_fixed_size 0
		.amdhsa_private_segment_fixed_size 0
		.amdhsa_kernarg_size 104
		.amdhsa_user_sgpr_count 6
		.amdhsa_user_sgpr_private_segment_buffer 1
		.amdhsa_user_sgpr_dispatch_ptr 0
		.amdhsa_user_sgpr_queue_ptr 0
		.amdhsa_user_sgpr_kernarg_segment_ptr 1
		.amdhsa_user_sgpr_dispatch_id 0
		.amdhsa_user_sgpr_flat_scratch_init 0
		.amdhsa_user_sgpr_private_segment_size 0
		.amdhsa_uses_dynamic_stack 0
		.amdhsa_system_sgpr_private_segment_wavefront_offset 0
		.amdhsa_system_sgpr_workgroup_id_x 1
		.amdhsa_system_sgpr_workgroup_id_y 0
		.amdhsa_system_sgpr_workgroup_id_z 0
		.amdhsa_system_sgpr_workgroup_info 0
		.amdhsa_system_vgpr_workitem_id 0
		.amdhsa_next_free_vgpr 160
		.amdhsa_next_free_sgpr 28
		.amdhsa_reserve_vcc 1
		.amdhsa_reserve_flat_scratch 0
		.amdhsa_float_round_mode_32 0
		.amdhsa_float_round_mode_16_64 0
		.amdhsa_float_denorm_mode_32 3
		.amdhsa_float_denorm_mode_16_64 3
		.amdhsa_dx10_clamp 1
		.amdhsa_ieee_mode 1
		.amdhsa_fp16_overflow 0
		.amdhsa_exception_fp_ieee_invalid_op 0
		.amdhsa_exception_fp_denorm_src 0
		.amdhsa_exception_fp_ieee_div_zero 0
		.amdhsa_exception_fp_ieee_overflow 0
		.amdhsa_exception_fp_ieee_underflow 0
		.amdhsa_exception_fp_ieee_inexact 0
		.amdhsa_exception_int_div_zero 0
	.end_amdhsa_kernel
	.text
.Lfunc_end0:
	.size	fft_rtc_back_len1224_factors_17_3_4_6_wgs_204_tpt_102_halfLds_sp_op_CI_CI_unitstride_sbrr_R2C_dirReg, .Lfunc_end0-fft_rtc_back_len1224_factors_17_3_4_6_wgs_204_tpt_102_halfLds_sp_op_CI_CI_unitstride_sbrr_R2C_dirReg
                                        ; -- End function
	.section	.AMDGPU.csdata,"",@progbits
; Kernel info:
; codeLenInByte = 11096
; NumSgprs: 32
; NumVgprs: 160
; ScratchSize: 0
; MemoryBound: 0
; FloatMode: 240
; IeeeMode: 1
; LDSByteSize: 0 bytes/workgroup (compile time only)
; SGPRBlocks: 3
; VGPRBlocks: 39
; NumSGPRsForWavesPerEU: 32
; NumVGPRsForWavesPerEU: 160
; Occupancy: 1
; WaveLimiterHint : 1
; COMPUTE_PGM_RSRC2:SCRATCH_EN: 0
; COMPUTE_PGM_RSRC2:USER_SGPR: 6
; COMPUTE_PGM_RSRC2:TRAP_HANDLER: 0
; COMPUTE_PGM_RSRC2:TGID_X_EN: 1
; COMPUTE_PGM_RSRC2:TGID_Y_EN: 0
; COMPUTE_PGM_RSRC2:TGID_Z_EN: 0
; COMPUTE_PGM_RSRC2:TIDIG_COMP_CNT: 0
	.type	__hip_cuid_978be6bda40002b3,@object ; @__hip_cuid_978be6bda40002b3
	.section	.bss,"aw",@nobits
	.globl	__hip_cuid_978be6bda40002b3
__hip_cuid_978be6bda40002b3:
	.byte	0                               ; 0x0
	.size	__hip_cuid_978be6bda40002b3, 1

	.ident	"AMD clang version 19.0.0git (https://github.com/RadeonOpenCompute/llvm-project roc-6.4.0 25133 c7fe45cf4b819c5991fe208aaa96edf142730f1d)"
	.section	".note.GNU-stack","",@progbits
	.addrsig
	.addrsig_sym __hip_cuid_978be6bda40002b3
	.amdgpu_metadata
---
amdhsa.kernels:
  - .args:
      - .actual_access:  read_only
        .address_space:  global
        .offset:         0
        .size:           8
        .value_kind:     global_buffer
      - .offset:         8
        .size:           8
        .value_kind:     by_value
      - .actual_access:  read_only
        .address_space:  global
        .offset:         16
        .size:           8
        .value_kind:     global_buffer
      - .actual_access:  read_only
        .address_space:  global
        .offset:         24
        .size:           8
        .value_kind:     global_buffer
      - .actual_access:  read_only
        .address_space:  global
        .offset:         32
        .size:           8
        .value_kind:     global_buffer
      - .offset:         40
        .size:           8
        .value_kind:     by_value
      - .actual_access:  read_only
        .address_space:  global
        .offset:         48
        .size:           8
        .value_kind:     global_buffer
      - .actual_access:  read_only
        .address_space:  global
        .offset:         56
        .size:           8
        .value_kind:     global_buffer
      - .offset:         64
        .size:           4
        .value_kind:     by_value
      - .actual_access:  read_only
        .address_space:  global
        .offset:         72
        .size:           8
        .value_kind:     global_buffer
      - .actual_access:  read_only
        .address_space:  global
        .offset:         80
        .size:           8
        .value_kind:     global_buffer
      - .actual_access:  read_only
        .address_space:  global
        .offset:         88
        .size:           8
        .value_kind:     global_buffer
      - .actual_access:  write_only
        .address_space:  global
        .offset:         96
        .size:           8
        .value_kind:     global_buffer
    .group_segment_fixed_size: 0
    .kernarg_segment_align: 8
    .kernarg_segment_size: 104
    .language:       OpenCL C
    .language_version:
      - 2
      - 0
    .max_flat_workgroup_size: 204
    .name:           fft_rtc_back_len1224_factors_17_3_4_6_wgs_204_tpt_102_halfLds_sp_op_CI_CI_unitstride_sbrr_R2C_dirReg
    .private_segment_fixed_size: 0
    .sgpr_count:     32
    .sgpr_spill_count: 0
    .symbol:         fft_rtc_back_len1224_factors_17_3_4_6_wgs_204_tpt_102_halfLds_sp_op_CI_CI_unitstride_sbrr_R2C_dirReg.kd
    .uniform_work_group_size: 1
    .uses_dynamic_stack: false
    .vgpr_count:     160
    .vgpr_spill_count: 0
    .wavefront_size: 64
amdhsa.target:   amdgcn-amd-amdhsa--gfx906
amdhsa.version:
  - 1
  - 2
...

	.end_amdgpu_metadata
